;; amdgpu-corpus repo=ggml-org/llama.cpp kind=compiled arch=gfx1250 opt=O3
	.amdgcn_target "amdgcn-amd-amdhsa--gfx1250"
	.amdhsa_code_object_version 6
	.section	.text._Z13topk_moe_cudaILi1ELb1EEvPKfPfPiS2_iiff15topk_moe_config,"axG",@progbits,_Z13topk_moe_cudaILi1ELb1EEvPKfPfPiS2_iiff15topk_moe_config,comdat
	.protected	_Z13topk_moe_cudaILi1ELb1EEvPKfPfPiS2_iiff15topk_moe_config ; -- Begin function _Z13topk_moe_cudaILi1ELb1EEvPKfPfPiS2_iiff15topk_moe_config
	.globl	_Z13topk_moe_cudaILi1ELb1EEvPKfPfPiS2_iiff15topk_moe_config
	.p2align	8
	.type	_Z13topk_moe_cudaILi1ELb1EEvPKfPfPiS2_iiff15topk_moe_config,@function
_Z13topk_moe_cudaILi1ELb1EEvPKfPfPiS2_iiff15topk_moe_config: ; @_Z13topk_moe_cudaILi1ELb1EEvPKfPfPiS2_iiff15topk_moe_config
; %bb.0:
	s_clause 0x1
	s_load_u16 s2, s[0:1], 0x46
	s_load_b128 s[12:15], s[0:1], 0x20
	s_bfe_u32 s3, ttmp6, 0x4000c
	s_and_b32 s4, ttmp6, 15
	s_add_co_i32 s3, s3, 1
	v_bfe_u32 v1, v0, 10, 10
	s_mul_i32 s3, ttmp9, s3
	s_delay_alu instid0(SALU_CYCLE_1) | instskip(SKIP_1) | instid1(SALU_CYCLE_1)
	s_add_co_i32 s4, s4, s3
	s_getreg_b32 s3, hwreg(HW_REG_IB_STS2, 6, 4)
	s_cmp_eq_u32 s3, 0
	s_cselect_b32 s3, ttmp9, s4
	s_wait_kmcnt 0x0
	v_mad_u32 v2, s3, s2, v1
	s_mov_b32 s2, exec_lo
	s_delay_alu instid0(VALU_DEP_1)
	v_cmpx_gt_i32_e64 s12, v2
	s_cbranch_execz .LBB0_37
; %bb.1:
	v_mov_b32_e32 v3, 0
	v_and_b32_e32 v11, 0x3ff, v0
	v_mov_b32_e32 v0, 0xff800000
	s_load_b256 s[4:11], s[0:1], 0x0
	s_clause 0x1
	global_load_u16 v1, v3, s[0:1] offset:48
	global_load_i8 v4, v3, s[0:1] offset:50
	s_wait_xcnt 0x0
	v_ashrrev_i32_e32 v3, 31, v2
	v_cmp_eq_u32_e64 s1, 0, v11
	s_wait_loadcnt 0x1
	v_readfirstlane_b32 s2, v1
	s_and_saveexec_b32 s0, s1
	s_cbranch_execz .LBB0_3
; %bb.2:
	s_wait_kmcnt 0x0
	v_lshl_add_u64 v[6:7], v[2:3], 2, s[4:5]
	global_load_b32 v0, v[6:7], off
.LBB0_3:
	s_wait_xcnt 0x0
	s_or_b32 exec_lo, exec_lo, s0
	s_wait_loadcnt 0x0
	v_and_b32_e32 v4, 1, v4
	s_delay_alu instid0(VALU_DEP_1)
	v_cmp_eq_u32_e64 s0, 1, v4
	s_and_b32 vcc_lo, exec_lo, s0
	s_cbranch_vccnz .LBB0_9
; %bb.4:
	v_and_b32_e32 v1, 1, v1
	s_mov_b32 s3, 0
	s_delay_alu instid0(VALU_DEP_1)
	v_cmp_eq_u32_e32 vcc_lo, 0, v1
	s_cbranch_vccz .LBB0_6
; %bb.5:
	v_mbcnt_lo_u32_b32 v1, -1, 0
	s_delay_alu instid0(VALU_DEP_1) | instskip(NEXT) | instid1(VALU_DEP_1)
	v_dual_max_num_f32 v5, v0, v0 :: v_dual_bitop2_b32 v4, 16, v1 bitop3:0x14
	v_max_num_f32_e32 v5, 0xff800000, v5
	v_xor_b32_e32 v7, 8, v1
	v_xor_b32_e32 v9, 2, v1
	s_delay_alu instid0(VALU_DEP_4) | instskip(SKIP_1) | instid1(VALU_DEP_4)
	v_cmp_gt_i32_e32 vcc_lo, 32, v4
	v_cndmask_b32_e32 v4, v1, v4, vcc_lo
	v_cmp_gt_i32_e32 vcc_lo, 32, v7
	s_delay_alu instid0(VALU_DEP_2) | instskip(SKIP_3) | instid1(VALU_DEP_1)
	v_lshlrev_b32_e32 v4, 2, v4
	ds_bpermute_b32 v6, v4, v5
	s_wait_dscnt 0x0
	v_dual_cndmask_b32 v7, v1, v7 :: v_dual_max_num_f32 v6, v6, v6
	v_dual_lshlrev_b32 v7, 2, v7 :: v_dual_max_num_f32 v5, v5, v6
	ds_bpermute_b32 v6, v7, v5
	s_wait_dscnt 0x0
	v_dual_max_num_f32 v6, v6, v6 :: v_dual_bitop2_b32 v8, 4, v1 bitop3:0x14
	s_delay_alu instid0(VALU_DEP_1) | instskip(NEXT) | instid1(VALU_DEP_2)
	v_cmp_gt_i32_e32 vcc_lo, 32, v8
	v_max_num_f32_e32 v5, v5, v6
	v_cndmask_b32_e32 v8, v1, v8, vcc_lo
	v_cmp_gt_i32_e32 vcc_lo, 32, v9
	s_delay_alu instid0(VALU_DEP_2) | instskip(SKIP_3) | instid1(VALU_DEP_1)
	v_lshlrev_b32_e32 v8, 2, v8
	ds_bpermute_b32 v6, v8, v5
	s_wait_dscnt 0x0
	v_dual_cndmask_b32 v9, v1, v9 :: v_dual_max_num_f32 v6, v6, v6
	v_dual_lshlrev_b32 v9, 2, v9 :: v_dual_max_num_f32 v5, v5, v6
	ds_bpermute_b32 v6, v9, v5
	s_wait_dscnt 0x0
	v_dual_max_num_f32 v6, v6, v6 :: v_dual_bitop2_b32 v10, 1, v1 bitop3:0x14
	s_delay_alu instid0(VALU_DEP_1) | instskip(NEXT) | instid1(VALU_DEP_2)
	v_cmp_gt_i32_e32 vcc_lo, 32, v10
	v_max_num_f32_e32 v5, v5, v6
	v_cndmask_b32_e32 v1, v1, v10, vcc_lo
	s_delay_alu instid0(VALU_DEP_1) | instskip(SKIP_3) | instid1(VALU_DEP_1)
	v_lshlrev_b32_e32 v1, 2, v1
	ds_bpermute_b32 v6, v1, v5
	s_wait_dscnt 0x0
	v_max_num_f32_e32 v6, v6, v6
	v_max_num_f32_e32 v5, v5, v6
	s_delay_alu instid0(VALU_DEP_1) | instskip(NEXT) | instid1(VALU_DEP_1)
	v_sub_f32_e32 v5, v0, v5
	v_mul_f32_e32 v6, 0x3fb8aa3b, v5
	v_cmp_ngt_f32_e32 vcc_lo, 0xc2ce8ed0, v5
	s_delay_alu instid0(VALU_DEP_2) | instskip(SKIP_1) | instid1(VALU_DEP_2)
	v_fma_f32 v10, 0x3fb8aa3b, v5, -v6
	v_rndne_f32_e32 v12, v6
	v_fmamk_f32 v10, v5, 0x32a5705f, v10
	s_delay_alu instid0(VALU_DEP_2) | instskip(NEXT) | instid1(VALU_DEP_1)
	v_sub_f32_e32 v6, v6, v12
	v_add_f32_e32 v6, v6, v10
	v_cvt_i32_f32_e32 v10, v12
	s_delay_alu instid0(VALU_DEP_2) | instskip(SKIP_1) | instid1(TRANS32_DEP_1)
	v_exp_f32_e32 v6, v6
	v_nop
	v_ldexp_f32 v6, v6, v10
	s_delay_alu instid0(VALU_DEP_1) | instskip(SKIP_1) | instid1(VALU_DEP_2)
	v_cndmask_b32_e32 v6, 0, v6, vcc_lo
	v_cmp_nlt_f32_e32 vcc_lo, 0x42b17218, v5
	v_cndmask_b32_e32 v5, 0x7f800000, v6, vcc_lo
	ds_bpermute_b32 v4, v4, v5
	s_wait_dscnt 0x0
	v_add_f32_e32 v4, v5, v4
	ds_bpermute_b32 v6, v7, v4
	s_wait_dscnt 0x0
	v_add_f32_e32 v4, v4, v6
	ds_bpermute_b32 v6, v8, v4
	s_wait_dscnt 0x0
	v_add_f32_e32 v4, v4, v6
	ds_bpermute_b32 v6, v9, v4
	s_wait_dscnt 0x0
	v_add_f32_e32 v4, v4, v6
	ds_bpermute_b32 v1, v1, v4
	s_wait_dscnt 0x0
	v_add_f32_e32 v1, v4, v1
	s_delay_alu instid0(VALU_DEP_1) | instskip(NEXT) | instid1(VALU_DEP_1)
	v_div_scale_f32 v4, null, v1, v1, 1.0
	v_rcp_f32_e32 v6, v4
	v_nop
	s_delay_alu instid0(TRANS32_DEP_1) | instskip(NEXT) | instid1(VALU_DEP_1)
	v_fma_f32 v7, -v4, v6, 1.0
	v_fmac_f32_e32 v6, v7, v6
	v_div_scale_f32 v7, vcc_lo, 1.0, v1, 1.0
	s_delay_alu instid0(VALU_DEP_1) | instskip(NEXT) | instid1(VALU_DEP_1)
	v_mul_f32_e32 v8, v7, v6
	v_fma_f32 v9, -v4, v8, v7
	s_delay_alu instid0(VALU_DEP_1) | instskip(NEXT) | instid1(VALU_DEP_1)
	v_fmac_f32_e32 v8, v9, v6
	v_fma_f32 v4, -v4, v8, v7
	s_delay_alu instid0(VALU_DEP_1) | instskip(NEXT) | instid1(VALU_DEP_1)
	v_div_fmas_f32 v4, v4, v6, v8
	v_div_fixup_f32 v1, v4, v1, 1.0
	s_delay_alu instid0(VALU_DEP_1)
	v_mul_f32_e32 v1, v5, v1
	s_and_not1_b32 vcc_lo, exec_lo, s3
	s_cbranch_vccz .LBB0_7
	s_branch .LBB0_8
.LBB0_6:
                                        ; implicit-def: $vgpr1
.LBB0_7:
	v_mul_f32_e32 v1, 0xbfb8aa3b, v0
	v_cmp_nlt_f32_e32 vcc_lo, 0x42ce8ed0, v0
	s_delay_alu instid0(VALU_DEP_2) | instskip(SKIP_1) | instid1(VALU_DEP_2)
	v_rndne_f32_e32 v4, v1
	v_fma_f32 v5, 0xbfb8aa3b, v0, -v1
	v_sub_f32_e32 v1, v1, v4
	s_delay_alu instid0(VALU_DEP_2) | instskip(SKIP_1) | instid1(VALU_DEP_2)
	v_fmamk_f32 v5, v0, 0xb2a5705f, v5
	v_cvt_i32_f32_e32 v4, v4
	v_add_f32_e32 v1, v1, v5
	s_delay_alu instid0(VALU_DEP_1) | instskip(SKIP_1) | instid1(TRANS32_DEP_1)
	v_exp_f32_e32 v1, v1
	v_nop
	v_ldexp_f32 v1, v1, v4
	s_delay_alu instid0(VALU_DEP_1) | instskip(SKIP_1) | instid1(VALU_DEP_2)
	v_cndmask_b32_e32 v1, 0, v1, vcc_lo
	v_cmp_ngt_f32_e32 vcc_lo, 0xc2b17218, v0
	v_cndmask_b32_e32 v0, 0x7f800000, v1, vcc_lo
	s_delay_alu instid0(VALU_DEP_1) | instskip(NEXT) | instid1(VALU_DEP_1)
	v_add_f32_e32 v0, 1.0, v0
	v_div_scale_f32 v1, null, v0, v0, 1.0
	s_delay_alu instid0(VALU_DEP_1) | instskip(SKIP_1) | instid1(TRANS32_DEP_1)
	v_rcp_f32_e32 v4, v1
	v_nop
	v_fma_f32 v5, -v1, v4, 1.0
	s_delay_alu instid0(VALU_DEP_1) | instskip(SKIP_1) | instid1(VALU_DEP_1)
	v_fmac_f32_e32 v4, v5, v4
	v_div_scale_f32 v5, vcc_lo, 1.0, v0, 1.0
	v_mul_f32_e32 v6, v5, v4
	s_delay_alu instid0(VALU_DEP_1) | instskip(NEXT) | instid1(VALU_DEP_1)
	v_fma_f32 v7, -v1, v6, v5
	v_fmac_f32_e32 v6, v7, v4
	s_delay_alu instid0(VALU_DEP_1) | instskip(NEXT) | instid1(VALU_DEP_1)
	v_fma_f32 v1, -v1, v6, v5
	v_div_fmas_f32 v1, v1, v4, v6
	s_delay_alu instid0(VALU_DEP_1)
	v_div_fixup_f32 v1, v1, v0, 1.0
.LBB0_8:
	s_delay_alu instid0(VALU_DEP_1)
	v_mov_b32_e32 v0, v1
.LBB0_9:
	s_delay_alu instid0(VALU_DEP_1)
	v_cmp_o_f32_e32 vcc_lo, v0, v0
	v_mov_b32_e32 v1, 0xff800000
	v_cndmask_b32_e32 v0, 0xff7fffff, v0, vcc_lo
	s_and_saveexec_b32 s3, s1
	s_cbranch_execz .LBB0_11
; %bb.10:
	s_wait_kmcnt 0x0
	s_load_b32 s1, s[10:11], 0x0
	s_wait_kmcnt 0x0
	v_add_f32_e32 v1, s1, v0
.LBB0_11:
	s_or_b32 exec_lo, exec_lo, s3
	s_lshr_b32 s1, s2, 8
	s_cmp_gt_i32 s13, 0
	s_mov_b32 s2, 0
	s_cbranch_scc1 .LBB0_13
; %bb.12:
	s_bitcmp1_b32 s1, 0
	s_cselect_b32 s3, -1, 0
	s_branch .LBB0_14
.LBB0_13:
	s_mov_b32 s2, -1
                                        ; implicit-def: $sgpr3
.LBB0_14:
	v_dual_mov_b32 v14, 0 :: v_dual_mov_b32 v13, 0
	v_mbcnt_lo_u32_b32 v12, -1, 0
	s_and_not1_b32 vcc_lo, exec_lo, s2
	s_cbranch_vccnz .LBB0_33
; %bb.15:
	s_wait_kmcnt 0x0
	v_lshl_add_u64 v[4:5], v[2:3], 2, s[8:9]
	v_xor_b32_e32 v3, 8, v12
	v_dual_mov_b32 v13, 0 :: v_dual_bitop2_b32 v6, 16, v12 bitop3:0x14
	s_bitcmp1_b32 s1, 0
	s_mov_b32 s4, 0
	s_cselect_b32 s3, -1, 0
	s_delay_alu instid0(VALU_DEP_1) | instskip(SKIP_3) | instid1(VALU_DEP_1)
	v_cmp_gt_i32_e32 vcc_lo, 32, v6
	v_dual_mov_b32 v14, 0 :: v_dual_cndmask_b32 v6, v12, v6, vcc_lo
	v_cmp_gt_i32_e32 vcc_lo, 32, v3
	v_dual_cndmask_b32 v9, v12, v3, vcc_lo :: v_dual_bitop2_b32 v3, 1, v12 bitop3:0x14
	v_dual_lshlrev_b32 v15, 2, v9 :: v_dual_bitop2_b32 v7, 4, v12 bitop3:0x14
	s_delay_alu instid0(VALU_DEP_1) | instskip(SKIP_1) | instid1(VALU_DEP_1)
	v_cmp_gt_i32_e32 vcc_lo, 32, v7
	v_dual_cndmask_b32 v7, v12, v7, vcc_lo :: v_dual_bitop2_b32 v8, 2, v12 bitop3:0x14
	v_cmp_gt_i32_e32 vcc_lo, 32, v8
	v_cndmask_b32_e32 v8, v12, v8, vcc_lo
	v_cmp_gt_i32_e32 vcc_lo, 32, v3
	v_dual_cndmask_b32 v10, v12, v3 :: v_dual_lshlrev_b32 v3, 2, v6
	s_delay_alu instid0(VALU_DEP_3) | instskip(NEXT) | instid1(VALU_DEP_2)
	v_dual_lshlrev_b32 v16, 2, v7 :: v_dual_lshlrev_b32 v17, 2, v8
	v_lshlrev_b32_e32 v18, 2, v10
	s_branch .LBB0_17
.LBB0_16:                               ;   in Loop: Header=BB0_17 Depth=1
	s_wait_xcnt 0x0
	s_or_b32 exec_lo, exec_lo, s1
	s_and_b32 s1, s4, 31
	v_cndmask_b32_e64 v1, v1, 0xff800000, vcc_lo
	v_cmp_eq_u32_e32 vcc_lo, s1, v11
	v_add_nc_u64_e32 v[4:5], 4, v[4:5]
	s_add_co_i32 s4, s4, 1
	s_delay_alu instid0(SALU_CYCLE_1)
	s_cmp_eq_u32 s13, s4
	v_cndmask_b32_e32 v13, v13, v6, vcc_lo
	s_cbranch_scc1 .LBB0_33
.LBB0_17:                               ; =>This Inner Loop Header: Depth=1
	ds_bpermute_b32 v9, v3, v1
	ds_bpermute_b32 v10, v3, v11
	;; [unrolled: 1-line block ×3, first 2 shown]
	v_mov_b64_e32 v[6:7], v[0:1]
	v_dual_mov_b32 v19, v1 :: v_dual_mov_b32 v21, v0
	v_mov_b32_e32 v20, v11
	s_wait_dscnt 0x2
	v_cmp_eq_f32_e64 s1, v1, v9
	s_wait_dscnt 0x1
	v_cmp_lt_i32_e64 s2, v10, v11
	v_cmp_lt_f32_e32 vcc_lo, v1, v9
	s_and_b32 s1, s1, s2
	s_delay_alu instid0(SALU_CYCLE_1) | instskip(NEXT) | instid1(SALU_CYCLE_1)
	s_or_b32 s2, vcc_lo, s1
	s_and_saveexec_b32 s1, s2
	s_cbranch_execz .LBB0_19
; %bb.18:                               ;   in Loop: Header=BB0_17 Depth=1
	s_wait_dscnt 0x0
	v_mov_b64_e32 v[6:7], v[8:9]
	v_dual_mov_b32 v19, v9 :: v_dual_mov_b32 v21, v8
	v_mov_b32_e32 v20, v10
.LBB0_19:                               ;   in Loop: Header=BB0_17 Depth=1
	s_or_b32 exec_lo, exec_lo, s1
	ds_bpermute_b32 v23, v15, v19
	ds_bpermute_b32 v10, v15, v21
	ds_bpermute_b32 v22, v15, v20
	s_mov_b32 s5, exec_lo
	s_wait_dscnt 0x2
	v_cmp_lt_f32_e64 s2, v7, v23
	v_cmpx_nlt_f32_e32 v7, v23
	s_cbranch_execz .LBB0_21
; %bb.20:                               ;   in Loop: Header=BB0_17 Depth=1
	v_cmp_eq_f32_e32 vcc_lo, v7, v23
	s_wait_dscnt 0x0
	v_cmp_lt_i32_e64 s1, v22, v20
	s_and_not1_b32 s2, s2, exec_lo
	s_and_b32 s1, vcc_lo, s1
	s_delay_alu instid0(SALU_CYCLE_1) | instskip(NEXT) | instid1(SALU_CYCLE_1)
	s_and_b32 s1, s1, exec_lo
	s_or_b32 s2, s2, s1
.LBB0_21:                               ;   in Loop: Header=BB0_17 Depth=1
	s_or_b32 exec_lo, exec_lo, s5
	v_mov_b64_e32 v[8:9], v[6:7]
	s_and_saveexec_b32 s1, s2
	s_cbranch_execz .LBB0_23
; %bb.22:                               ;   in Loop: Header=BB0_17 Depth=1
	s_wait_dscnt 0x1
	v_mov_b64_e32 v[8:9], v[10:11]
	v_dual_mov_b32 v7, v23 :: v_dual_mov_b32 v19, v23
	s_wait_dscnt 0x0
	v_dual_mov_b32 v21, v10 :: v_dual_mov_b32 v20, v22
.LBB0_23:                               ;   in Loop: Header=BB0_17 Depth=1
	s_or_b32 exec_lo, exec_lo, s1
	s_wait_dscnt 0x1
	ds_bpermute_b32 v10, v16, v19
	ds_bpermute_b32 v6, v16, v21
	;; [unrolled: 1-line block ×3, first 2 shown]
	s_mov_b32 s5, exec_lo
	s_wait_dscnt 0x2
	v_cmp_lt_f32_e64 s2, v7, v10
	v_cmpx_nlt_f32_e32 v7, v10
	s_cbranch_execz .LBB0_25
; %bb.24:                               ;   in Loop: Header=BB0_17 Depth=1
	v_cmp_eq_f32_e32 vcc_lo, v7, v10
	s_wait_dscnt 0x0
	v_cmp_lt_i32_e64 s1, v9, v20
	s_and_not1_b32 s2, s2, exec_lo
	s_and_b32 s1, vcc_lo, s1
	s_delay_alu instid0(SALU_CYCLE_1) | instskip(NEXT) | instid1(SALU_CYCLE_1)
	s_and_b32 s1, s1, exec_lo
	s_or_b32 s2, s2, s1
.LBB0_25:                               ;   in Loop: Header=BB0_17 Depth=1
	s_or_b32 exec_lo, exec_lo, s5
	s_and_saveexec_b32 s1, s2
	s_cbranch_execz .LBB0_27
; %bb.26:                               ;   in Loop: Header=BB0_17 Depth=1
	v_dual_mov_b32 v7, v10 :: v_dual_mov_b32 v19, v10
	s_wait_dscnt 0x0
	v_dual_mov_b32 v21, v6 :: v_dual_mov_b32 v20, v9
	s_delay_alu instid0(VALU_DEP_2)
	v_mov_b64_e32 v[8:9], v[6:7]
.LBB0_27:                               ;   in Loop: Header=BB0_17 Depth=1
	s_or_b32 exec_lo, exec_lo, s1
	ds_bpermute_b32 v10, v17, v19
	s_wait_dscnt 0x2
	ds_bpermute_b32 v6, v17, v21
	s_wait_dscnt 0x2
	ds_bpermute_b32 v9, v17, v20
	s_mov_b32 s5, exec_lo
	s_wait_dscnt 0x2
	v_cmp_lt_f32_e64 s2, v7, v10
	v_cmpx_nlt_f32_e32 v7, v10
	s_cbranch_execz .LBB0_29
; %bb.28:                               ;   in Loop: Header=BB0_17 Depth=1
	v_cmp_eq_f32_e32 vcc_lo, v7, v10
	s_wait_dscnt 0x0
	v_cmp_lt_i32_e64 s1, v9, v20
	s_and_not1_b32 s2, s2, exec_lo
	s_and_b32 s1, vcc_lo, s1
	s_delay_alu instid0(SALU_CYCLE_1) | instskip(NEXT) | instid1(SALU_CYCLE_1)
	s_and_b32 s1, s1, exec_lo
	s_or_b32 s2, s2, s1
.LBB0_29:                               ;   in Loop: Header=BB0_17 Depth=1
	s_or_b32 exec_lo, exec_lo, s5
	s_and_saveexec_b32 s1, s2
	s_cbranch_execz .LBB0_31
; %bb.30:                               ;   in Loop: Header=BB0_17 Depth=1
	v_dual_mov_b32 v7, v10 :: v_dual_mov_b32 v19, v10
	s_wait_dscnt 0x0
	v_dual_mov_b32 v21, v6 :: v_dual_mov_b32 v20, v9
	s_delay_alu instid0(VALU_DEP_2)
	v_mov_b64_e32 v[8:9], v[6:7]
.LBB0_31:                               ;   in Loop: Header=BB0_17 Depth=1
	s_or_b32 exec_lo, exec_lo, s1
	s_wait_dscnt 0x1
	ds_bpermute_b32 v6, v18, v19
	s_wait_dscnt 0x1
	ds_bpermute_b32 v9, v18, v20
	ds_bpermute_b32 v10, v18, v21
	s_wait_dscnt 0x2
	v_cmp_eq_f32_e32 vcc_lo, v7, v6
	s_wait_dscnt 0x1
	v_cmp_lt_i32_e64 s1, v9, v20
	v_cmp_lt_f32_e64 s2, v7, v6
	s_and_b32 s1, vcc_lo, s1
	s_delay_alu instid0(SALU_CYCLE_1) | instskip(SKIP_2) | instid1(VALU_DEP_1)
	s_or_b32 vcc_lo, s2, s1
	v_cndmask_b32_e32 v7, v20, v9, vcc_lo
	s_wait_dscnt 0x0
	v_dual_cndmask_b32 v6, v8, v10, vcc_lo :: v_dual_bitop2_b32 v8, 31, v7 bitop3:0x40
	s_delay_alu instid0(VALU_DEP_1)
	v_cmp_eq_u32_e32 vcc_lo, v8, v11
	s_and_saveexec_b32 s1, vcc_lo
	s_cbranch_execz .LBB0_16
; %bb.32:                               ;   in Loop: Header=BB0_17 Depth=1
	s_delay_alu instid0(VALU_DEP_2)
	v_add_f32_e32 v8, v14, v6
	global_store_b32 v[4:5], v7, off
	v_cndmask_b32_e64 v14, v14, v8, s3
	s_branch .LBB0_16
.LBB0_33:
	s_and_b32 vcc_lo, exec_lo, s3
	s_cbranch_vccnz .LBB0_38
; %bb.34:
	v_cmp_gt_i32_e64 s1, s13, v11
	s_and_not1_b32 vcc_lo, exec_lo, s0
	s_cbranch_vccz .LBB0_39
.LBB0_35:
	v_cmp_gt_i32_e32 vcc_lo, s13, v11
	s_and_b32 exec_lo, exec_lo, vcc_lo
	s_cbranch_execz .LBB0_37
.LBB0_36:
	v_mul_lo_u32 v0, v2, s13
	s_wait_dscnt 0x0
	v_dual_mov_b32 v3, 0 :: v_dual_lshlrev_b32 v2, 2, v11
	s_delay_alu instid0(VALU_DEP_2) | instskip(SKIP_1) | instid1(VALU_DEP_1)
	v_ashrrev_i32_e32 v1, 31, v0
	s_wait_kmcnt 0x0
	v_lshl_add_u64 v[0:1], v[0:1], 2, s[6:7]
	s_delay_alu instid0(VALU_DEP_1)
	v_add_nc_u64_e32 v[0:1], v[0:1], v[2:3]
	v_mul_f32_e32 v2, s15, v13
	global_store_b32 v[0:1], v2, off
.LBB0_37:
	s_endpgm
.LBB0_38:
	v_xor_b32_e32 v1, 8, v12
	v_xor_b32_e32 v0, 16, v12
	;; [unrolled: 1-line block ×3, first 2 shown]
	s_delay_alu instid0(VALU_DEP_2) | instskip(SKIP_4) | instid1(VALU_DEP_2)
	v_cmp_gt_i32_e32 vcc_lo, 32, v0
	v_cndmask_b32_e32 v0, v12, v0, vcc_lo
	v_cmp_gt_i32_e32 vcc_lo, 32, v1
	v_cndmask_b32_e32 v1, v12, v1, vcc_lo
	v_cmp_gt_i32_e32 vcc_lo, 32, v3
	v_dual_lshlrev_b32 v1, 2, v1 :: v_dual_lshlrev_b32 v0, 2, v0
	v_cndmask_b32_e32 v3, v12, v3, vcc_lo
	ds_bpermute_b32 v0, v0, v14
	s_wait_dscnt 0x0
	v_dual_add_f32 v0, v14, v0 :: v_dual_lshlrev_b32 v3, 2, v3
	ds_bpermute_b32 v1, v1, v0
	s_wait_dscnt 0x0
	v_add_f32_e32 v0, v0, v1
	ds_bpermute_b32 v1, v3, v0
	s_wait_dscnt 0x0
	v_dual_add_f32 v0, v0, v1 :: v_dual_bitop2_b32 v3, 2, v12 bitop3:0x14
	s_delay_alu instid0(VALU_DEP_1) | instskip(SKIP_1) | instid1(VALU_DEP_1)
	v_cmp_gt_i32_e32 vcc_lo, 32, v3
	v_cndmask_b32_e32 v3, v12, v3, vcc_lo
	v_lshlrev_b32_e32 v3, 2, v3
	ds_bpermute_b32 v1, v3, v0
	s_wait_dscnt 0x0
	v_dual_add_f32 v0, v0, v1 :: v_dual_bitop2_b32 v3, 1, v12 bitop3:0x14
	s_delay_alu instid0(VALU_DEP_1) | instskip(SKIP_1) | instid1(VALU_DEP_1)
	v_cmp_gt_i32_e32 vcc_lo, 32, v3
	v_cndmask_b32_e32 v3, v12, v3, vcc_lo
	v_lshlrev_b32_e32 v3, 2, v3
	ds_bpermute_b32 v1, v3, v0
	v_max_num_f32_e64 v3, s14, s14
	s_wait_dscnt 0x0
	v_add_f32_e32 v0, v0, v1
	s_delay_alu instid0(VALU_DEP_1) | instskip(NEXT) | instid1(VALU_DEP_1)
	v_max_num_f32_e32 v0, v0, v3
	v_div_scale_f32 v1, null, v0, v0, 1.0
	s_delay_alu instid0(VALU_DEP_1) | instskip(SKIP_1) | instid1(TRANS32_DEP_1)
	v_rcp_f32_e32 v3, v1
	v_nop
	v_fma_f32 v4, -v1, v3, 1.0
	s_delay_alu instid0(VALU_DEP_1) | instskip(SKIP_1) | instid1(VALU_DEP_1)
	v_fmac_f32_e32 v3, v4, v3
	v_div_scale_f32 v4, vcc_lo, 1.0, v0, 1.0
	v_mul_f32_e32 v5, v4, v3
	s_delay_alu instid0(VALU_DEP_1) | instskip(NEXT) | instid1(VALU_DEP_1)
	v_fma_f32 v6, -v1, v5, v4
	v_fmac_f32_e32 v5, v6, v3
	s_delay_alu instid0(VALU_DEP_1) | instskip(NEXT) | instid1(VALU_DEP_1)
	v_fma_f32 v1, -v1, v5, v4
	v_div_fmas_f32 v1, v1, v3, v5
	s_delay_alu instid0(VALU_DEP_1) | instskip(NEXT) | instid1(VALU_DEP_1)
	v_div_fixup_f32 v0, v1, v0, 1.0
	v_mul_f32_e32 v13, v0, v13
	v_cmp_gt_i32_e64 s1, s13, v11
	s_and_not1_b32 vcc_lo, exec_lo, s0
	s_cbranch_vccnz .LBB0_35
.LBB0_39:
	v_dual_max_num_f32 v0, v13, v13 :: v_dual_bitop2_b32 v1, 16, v12 bitop3:0x14
	v_xor_b32_e32 v4, 8, v12
	v_xor_b32_e32 v6, 2, v12
	s_delay_alu instid0(VALU_DEP_3) | instskip(NEXT) | instid1(VALU_DEP_4)
	v_cmp_gt_i32_e32 vcc_lo, 32, v1
	v_dual_max_num_f32 v0, 0xff800000, v0 :: v_dual_cndmask_b32 v1, v12, v1
	s_delay_alu instid0(VALU_DEP_1) | instskip(SKIP_1) | instid1(VALU_DEP_3)
	v_cndmask_b32_e64 v0, 0xff800000, v0, s1
	v_cmp_gt_i32_e32 vcc_lo, 32, v4
	v_lshlrev_b32_e32 v1, 2, v1
	ds_bpermute_b32 v3, v1, v0
	s_wait_dscnt 0x0
	v_dual_cndmask_b32 v4, v12, v4 :: v_dual_max_num_f32 v3, v3, v3
	s_delay_alu instid0(VALU_DEP_1) | instskip(SKIP_3) | instid1(VALU_DEP_1)
	v_dual_lshlrev_b32 v4, 2, v4 :: v_dual_max_num_f32 v0, v0, v3
	ds_bpermute_b32 v3, v4, v0
	s_wait_dscnt 0x0
	v_dual_max_num_f32 v3, v3, v3 :: v_dual_bitop2_b32 v5, 4, v12 bitop3:0x14
	v_cmp_gt_i32_e32 vcc_lo, 32, v5
	s_delay_alu instid0(VALU_DEP_2) | instskip(SKIP_2) | instid1(VALU_DEP_2)
	v_max_num_f32_e32 v0, v0, v3
	v_cndmask_b32_e32 v5, v12, v5, vcc_lo
	v_cmp_gt_i32_e32 vcc_lo, 32, v6
	v_lshlrev_b32_e32 v5, 2, v5
	ds_bpermute_b32 v3, v5, v0
	s_wait_dscnt 0x0
	v_dual_cndmask_b32 v6, v12, v6 :: v_dual_max_num_f32 v3, v3, v3
	s_delay_alu instid0(VALU_DEP_1) | instskip(SKIP_3) | instid1(VALU_DEP_1)
	v_dual_lshlrev_b32 v6, 2, v6 :: v_dual_max_num_f32 v0, v0, v3
	ds_bpermute_b32 v3, v6, v0
	s_wait_dscnt 0x0
	v_dual_max_num_f32 v3, v3, v3 :: v_dual_bitop2_b32 v7, 1, v12 bitop3:0x14
	v_cmp_gt_i32_e32 vcc_lo, 32, v7
	s_delay_alu instid0(VALU_DEP_2) | instskip(SKIP_1) | instid1(VALU_DEP_1)
	v_max_num_f32_e32 v0, v0, v3
	v_cndmask_b32_e32 v7, v12, v7, vcc_lo
	v_lshlrev_b32_e32 v7, 2, v7
	ds_bpermute_b32 v3, v7, v0
	s_wait_dscnt 0x0
	v_max_num_f32_e32 v3, v3, v3
	s_delay_alu instid0(VALU_DEP_1) | instskip(NEXT) | instid1(VALU_DEP_1)
	v_max_num_f32_e32 v0, v0, v3
	v_dual_sub_f32 v0, v13, v0 :: v_dual_mov_b32 v13, 0
	s_delay_alu instid0(VALU_DEP_1) | instskip(SKIP_1) | instid1(VALU_DEP_2)
	v_mul_f32_e32 v3, 0x3fb8aa3b, v0
	v_cmp_ngt_f32_e32 vcc_lo, 0xc2ce8ed0, v0
	v_fma_f32 v8, 0x3fb8aa3b, v0, -v3
	v_rndne_f32_e32 v9, v3
	s_delay_alu instid0(VALU_DEP_1) | instskip(NEXT) | instid1(VALU_DEP_1)
	v_dual_fmamk_f32 v8, v0, 0x32a5705f, v8 :: v_dual_sub_f32 v3, v3, v9
	v_add_f32_e32 v3, v3, v8
	v_cvt_i32_f32_e32 v8, v9
	s_delay_alu instid0(VALU_DEP_2) | instskip(SKIP_1) | instid1(TRANS32_DEP_1)
	v_exp_f32_e32 v3, v3
	v_nop
	v_ldexp_f32 v3, v3, v8
	s_delay_alu instid0(VALU_DEP_1) | instskip(SKIP_1) | instid1(VALU_DEP_2)
	v_cndmask_b32_e32 v3, 0, v3, vcc_lo
	v_cmp_nlt_f32_e32 vcc_lo, 0x42b17218, v0
	v_cndmask_b32_e32 v0, 0x7f800000, v3, vcc_lo
	s_delay_alu instid0(VALU_DEP_1)
	v_cndmask_b32_e64 v3, 0, v0, s1
	ds_bpermute_b32 v1, v1, v3
	s_wait_dscnt 0x0
	v_add_f32_e32 v1, v3, v1
	ds_bpermute_b32 v3, v4, v1
	s_wait_dscnt 0x0
	v_add_f32_e32 v1, v1, v3
	;; [unrolled: 3-line block ×4, first 2 shown]
	ds_bpermute_b32 v3, v7, v1
	s_and_saveexec_b32 s0, s1
	s_cbranch_execz .LBB0_41
; %bb.40:
	s_wait_dscnt 0x0
	v_add_f32_e32 v1, v1, v3
	s_delay_alu instid0(VALU_DEP_1) | instskip(NEXT) | instid1(VALU_DEP_1)
	v_div_scale_f32 v3, null, v1, v1, 1.0
	v_rcp_f32_e32 v4, v3
	v_nop
	s_delay_alu instid0(TRANS32_DEP_1) | instskip(NEXT) | instid1(VALU_DEP_1)
	v_fma_f32 v5, -v3, v4, 1.0
	v_fmac_f32_e32 v4, v5, v4
	v_div_scale_f32 v5, vcc_lo, 1.0, v1, 1.0
	s_delay_alu instid0(VALU_DEP_1) | instskip(NEXT) | instid1(VALU_DEP_1)
	v_mul_f32_e32 v6, v5, v4
	v_fma_f32 v7, -v3, v6, v5
	s_delay_alu instid0(VALU_DEP_1) | instskip(NEXT) | instid1(VALU_DEP_1)
	v_fmac_f32_e32 v6, v7, v4
	v_fma_f32 v3, -v3, v6, v5
	s_delay_alu instid0(VALU_DEP_1) | instskip(NEXT) | instid1(VALU_DEP_1)
	v_div_fmas_f32 v3, v3, v4, v6
	v_div_fixup_f32 v1, v3, v1, 1.0
	s_delay_alu instid0(VALU_DEP_1)
	v_mul_f32_e32 v13, v0, v1
.LBB0_41:
	s_or_b32 exec_lo, exec_lo, s0
	v_cmp_gt_i32_e32 vcc_lo, s13, v11
	s_and_b32 exec_lo, exec_lo, vcc_lo
	s_cbranch_execnz .LBB0_36
	s_branch .LBB0_37
	.section	.rodata,"a",@progbits
	.p2align	6, 0x0
	.amdhsa_kernel _Z13topk_moe_cudaILi1ELb1EEvPKfPfPiS2_iiff15topk_moe_config
		.amdhsa_group_segment_fixed_size 0
		.amdhsa_private_segment_fixed_size 0
		.amdhsa_kernarg_size 312
		.amdhsa_user_sgpr_count 2
		.amdhsa_user_sgpr_dispatch_ptr 0
		.amdhsa_user_sgpr_queue_ptr 0
		.amdhsa_user_sgpr_kernarg_segment_ptr 1
		.amdhsa_user_sgpr_dispatch_id 0
		.amdhsa_user_sgpr_kernarg_preload_length 0
		.amdhsa_user_sgpr_kernarg_preload_offset 0
		.amdhsa_user_sgpr_private_segment_size 0
		.amdhsa_wavefront_size32 1
		.amdhsa_uses_dynamic_stack 0
		.amdhsa_enable_private_segment 0
		.amdhsa_system_sgpr_workgroup_id_x 1
		.amdhsa_system_sgpr_workgroup_id_y 0
		.amdhsa_system_sgpr_workgroup_id_z 0
		.amdhsa_system_sgpr_workgroup_info 0
		.amdhsa_system_vgpr_workitem_id 1
		.amdhsa_next_free_vgpr 24
		.amdhsa_next_free_sgpr 16
		.amdhsa_named_barrier_count 0
		.amdhsa_reserve_vcc 1
		.amdhsa_float_round_mode_32 0
		.amdhsa_float_round_mode_16_64 0
		.amdhsa_float_denorm_mode_32 3
		.amdhsa_float_denorm_mode_16_64 3
		.amdhsa_fp16_overflow 0
		.amdhsa_memory_ordered 1
		.amdhsa_forward_progress 1
		.amdhsa_inst_pref_size 24
		.amdhsa_round_robin_scheduling 0
		.amdhsa_exception_fp_ieee_invalid_op 0
		.amdhsa_exception_fp_denorm_src 0
		.amdhsa_exception_fp_ieee_div_zero 0
		.amdhsa_exception_fp_ieee_overflow 0
		.amdhsa_exception_fp_ieee_underflow 0
		.amdhsa_exception_fp_ieee_inexact 0
		.amdhsa_exception_int_div_zero 0
	.end_amdhsa_kernel
	.section	.text._Z13topk_moe_cudaILi1ELb1EEvPKfPfPiS2_iiff15topk_moe_config,"axG",@progbits,_Z13topk_moe_cudaILi1ELb1EEvPKfPfPiS2_iiff15topk_moe_config,comdat
.Lfunc_end0:
	.size	_Z13topk_moe_cudaILi1ELb1EEvPKfPfPiS2_iiff15topk_moe_config, .Lfunc_end0-_Z13topk_moe_cudaILi1ELb1EEvPKfPfPiS2_iiff15topk_moe_config
                                        ; -- End function
	.set _Z13topk_moe_cudaILi1ELb1EEvPKfPfPiS2_iiff15topk_moe_config.num_vgpr, 24
	.set _Z13topk_moe_cudaILi1ELb1EEvPKfPfPiS2_iiff15topk_moe_config.num_agpr, 0
	.set _Z13topk_moe_cudaILi1ELb1EEvPKfPfPiS2_iiff15topk_moe_config.numbered_sgpr, 16
	.set _Z13topk_moe_cudaILi1ELb1EEvPKfPfPiS2_iiff15topk_moe_config.num_named_barrier, 0
	.set _Z13topk_moe_cudaILi1ELb1EEvPKfPfPiS2_iiff15topk_moe_config.private_seg_size, 0
	.set _Z13topk_moe_cudaILi1ELb1EEvPKfPfPiS2_iiff15topk_moe_config.uses_vcc, 1
	.set _Z13topk_moe_cudaILi1ELb1EEvPKfPfPiS2_iiff15topk_moe_config.uses_flat_scratch, 0
	.set _Z13topk_moe_cudaILi1ELb1EEvPKfPfPiS2_iiff15topk_moe_config.has_dyn_sized_stack, 0
	.set _Z13topk_moe_cudaILi1ELb1EEvPKfPfPiS2_iiff15topk_moe_config.has_recursion, 0
	.set _Z13topk_moe_cudaILi1ELb1EEvPKfPfPiS2_iiff15topk_moe_config.has_indirect_call, 0
	.section	.AMDGPU.csdata,"",@progbits
; Kernel info:
; codeLenInByte = 3036
; TotalNumSgprs: 18
; NumVgprs: 24
; ScratchSize: 0
; MemoryBound: 0
; FloatMode: 240
; IeeeMode: 1
; LDSByteSize: 0 bytes/workgroup (compile time only)
; SGPRBlocks: 0
; VGPRBlocks: 1
; NumSGPRsForWavesPerEU: 18
; NumVGPRsForWavesPerEU: 24
; NamedBarCnt: 0
; Occupancy: 16
; WaveLimiterHint : 0
; COMPUTE_PGM_RSRC2:SCRATCH_EN: 0
; COMPUTE_PGM_RSRC2:USER_SGPR: 2
; COMPUTE_PGM_RSRC2:TRAP_HANDLER: 0
; COMPUTE_PGM_RSRC2:TGID_X_EN: 1
; COMPUTE_PGM_RSRC2:TGID_Y_EN: 0
; COMPUTE_PGM_RSRC2:TGID_Z_EN: 0
; COMPUTE_PGM_RSRC2:TIDIG_COMP_CNT: 1
	.section	.text._Z13topk_moe_cudaILi2ELb1EEvPKfPfPiS2_iiff15topk_moe_config,"axG",@progbits,_Z13topk_moe_cudaILi2ELb1EEvPKfPfPiS2_iiff15topk_moe_config,comdat
	.protected	_Z13topk_moe_cudaILi2ELb1EEvPKfPfPiS2_iiff15topk_moe_config ; -- Begin function _Z13topk_moe_cudaILi2ELb1EEvPKfPfPiS2_iiff15topk_moe_config
	.globl	_Z13topk_moe_cudaILi2ELb1EEvPKfPfPiS2_iiff15topk_moe_config
	.p2align	8
	.type	_Z13topk_moe_cudaILi2ELb1EEvPKfPfPiS2_iiff15topk_moe_config,@function
_Z13topk_moe_cudaILi2ELb1EEvPKfPfPiS2_iiff15topk_moe_config: ; @_Z13topk_moe_cudaILi2ELb1EEvPKfPfPiS2_iiff15topk_moe_config
; %bb.0:
	s_clause 0x1
	s_load_u16 s2, s[0:1], 0x46
	s_load_b128 s[12:15], s[0:1], 0x20
	s_bfe_u32 s3, ttmp6, 0x4000c
	s_and_b32 s4, ttmp6, 15
	s_add_co_i32 s3, s3, 1
	v_bfe_u32 v1, v0, 10, 10
	s_mul_i32 s3, ttmp9, s3
	s_delay_alu instid0(SALU_CYCLE_1) | instskip(SKIP_1) | instid1(SALU_CYCLE_1)
	s_add_co_i32 s4, s4, s3
	s_getreg_b32 s3, hwreg(HW_REG_IB_STS2, 6, 4)
	s_cmp_eq_u32 s3, 0
	s_cselect_b32 s3, ttmp9, s4
	s_wait_kmcnt 0x0
	v_mad_u32 v11, s3, s2, v1
	s_mov_b32 s2, exec_lo
	s_delay_alu instid0(VALU_DEP_1)
	v_cmpx_gt_i32_e64 s12, v11
	s_cbranch_execz .LBB1_37
; %bb.1:
	v_dual_mov_b32 v1, 0 :: v_dual_lshlrev_b32 v4, 1, v11
	s_load_b256 s[4:11], s[0:1], 0x0
	v_and_b32_e32 v12, 0x3ff, v0
	v_mov_b32_e32 v2, 0xff800000
	s_clause 0x1
	global_load_u16 v3, v1, s[0:1] offset:48
	global_load_i8 v6, v1, s[0:1] offset:50
	v_ashrrev_i32_e32 v5, 31, v4
	s_wait_xcnt 0x0
	v_cmp_gt_u32_e64 s1, 2, v12
	v_lshlrev_b32_e32 v0, 2, v12
	s_wait_loadcnt 0x1
	v_readfirstlane_b32 s2, v3
	s_and_saveexec_b32 s0, s1
	s_cbranch_execz .LBB1_3
; %bb.2:
	s_wait_kmcnt 0x0
	v_lshl_add_u64 v[8:9], v[4:5], 2, s[4:5]
	s_delay_alu instid0(VALU_DEP_1)
	v_add_nc_u64_e32 v[8:9], v[8:9], v[0:1]
	global_load_b32 v2, v[8:9], off
.LBB1_3:
	s_wait_xcnt 0x0
	s_or_b32 exec_lo, exec_lo, s0
	s_wait_loadcnt 0x0
	v_and_b32_e32 v1, 1, v6
	s_delay_alu instid0(VALU_DEP_1)
	v_cmp_eq_u32_e64 s0, 1, v1
	s_and_b32 vcc_lo, exec_lo, s0
	s_cbranch_vccnz .LBB1_9
; %bb.4:
	v_and_b32_e32 v1, 1, v3
	s_mov_b32 s3, 0
	s_delay_alu instid0(VALU_DEP_1)
	v_cmp_eq_u32_e32 vcc_lo, 0, v1
	s_cbranch_vccz .LBB1_6
; %bb.5:
	v_mbcnt_lo_u32_b32 v1, -1, 0
	s_delay_alu instid0(VALU_DEP_1) | instskip(SKIP_1) | instid1(VALU_DEP_2)
	v_dual_max_num_f32 v6, v2, v2 :: v_dual_bitop2_b32 v3, 16, v1 bitop3:0x14
	v_xor_b32_e32 v10, 2, v1
	v_max_num_f32_e32 v6, 0xff800000, v6
	v_xor_b32_e32 v8, 8, v1
	s_delay_alu instid0(VALU_DEP_4) | instskip(SKIP_1) | instid1(VALU_DEP_3)
	v_cmp_gt_i32_e32 vcc_lo, 32, v3
	v_cndmask_b32_e32 v3, v1, v3, vcc_lo
	v_cmp_gt_i32_e32 vcc_lo, 32, v8
	s_delay_alu instid0(VALU_DEP_2) | instskip(SKIP_3) | instid1(VALU_DEP_1)
	v_lshlrev_b32_e32 v3, 2, v3
	ds_bpermute_b32 v7, v3, v6
	s_wait_dscnt 0x0
	v_dual_cndmask_b32 v8, v1, v8 :: v_dual_max_num_f32 v7, v7, v7
	v_dual_lshlrev_b32 v8, 2, v8 :: v_dual_max_num_f32 v6, v6, v7
	ds_bpermute_b32 v7, v8, v6
	s_wait_dscnt 0x0
	v_dual_max_num_f32 v7, v7, v7 :: v_dual_bitop2_b32 v9, 4, v1 bitop3:0x14
	s_delay_alu instid0(VALU_DEP_1) | instskip(NEXT) | instid1(VALU_DEP_2)
	v_cmp_gt_i32_e32 vcc_lo, 32, v9
	v_dual_max_num_f32 v6, v6, v7 :: v_dual_cndmask_b32 v9, v1, v9
	v_cmp_gt_i32_e32 vcc_lo, 32, v10
	s_delay_alu instid0(VALU_DEP_2) | instskip(SKIP_3) | instid1(VALU_DEP_1)
	v_dual_cndmask_b32 v10, v1, v10 :: v_dual_lshlrev_b32 v9, 2, v9
	ds_bpermute_b32 v7, v9, v6
	s_wait_dscnt 0x0
	v_dual_max_num_f32 v7, v7, v7 :: v_dual_lshlrev_b32 v10, 2, v10
	v_max_num_f32_e32 v6, v6, v7
	ds_bpermute_b32 v7, v10, v6
	s_wait_dscnt 0x0
	v_dual_max_num_f32 v7, v7, v7 :: v_dual_bitop2_b32 v13, 1, v1 bitop3:0x14
	s_delay_alu instid0(VALU_DEP_1) | instskip(NEXT) | instid1(VALU_DEP_2)
	v_cmp_gt_i32_e32 vcc_lo, 32, v13
	v_dual_max_num_f32 v6, v6, v7 :: v_dual_cndmask_b32 v1, v1, v13
	s_delay_alu instid0(VALU_DEP_1) | instskip(SKIP_3) | instid1(VALU_DEP_1)
	v_lshlrev_b32_e32 v1, 2, v1
	ds_bpermute_b32 v7, v1, v6
	s_wait_dscnt 0x0
	v_max_num_f32_e32 v7, v7, v7
	v_max_num_f32_e32 v6, v6, v7
	s_delay_alu instid0(VALU_DEP_1) | instskip(NEXT) | instid1(VALU_DEP_1)
	v_sub_f32_e32 v6, v2, v6
	v_mul_f32_e32 v7, 0x3fb8aa3b, v6
	s_delay_alu instid0(VALU_DEP_1) | instskip(SKIP_1) | instid1(VALU_DEP_2)
	v_fma_f32 v13, 0x3fb8aa3b, v6, -v7
	v_rndne_f32_e32 v14, v7
	v_fmamk_f32 v13, v6, 0x32a5705f, v13
	s_delay_alu instid0(VALU_DEP_2) | instskip(NEXT) | instid1(VALU_DEP_1)
	v_sub_f32_e32 v7, v7, v14
	v_add_f32_e32 v7, v7, v13
	v_cvt_i32_f32_e32 v13, v14
	v_cmp_ngt_f32_e32 vcc_lo, 0xc2ce8ed0, v6
	s_delay_alu instid0(VALU_DEP_3) | instskip(SKIP_1) | instid1(TRANS32_DEP_1)
	v_exp_f32_e32 v7, v7
	v_nop
	v_ldexp_f32 v7, v7, v13
	s_delay_alu instid0(VALU_DEP_1) | instskip(SKIP_1) | instid1(VALU_DEP_2)
	v_cndmask_b32_e32 v7, 0, v7, vcc_lo
	v_cmp_nlt_f32_e32 vcc_lo, 0x42b17218, v6
	v_cndmask_b32_e32 v6, 0x7f800000, v7, vcc_lo
	ds_bpermute_b32 v3, v3, v6
	s_wait_dscnt 0x0
	v_add_f32_e32 v3, v6, v3
	ds_bpermute_b32 v7, v8, v3
	s_wait_dscnt 0x0
	v_add_f32_e32 v3, v3, v7
	;; [unrolled: 3-line block ×5, first 2 shown]
	s_delay_alu instid0(VALU_DEP_1) | instskip(NEXT) | instid1(VALU_DEP_1)
	v_div_scale_f32 v3, null, v1, v1, 1.0
	v_rcp_f32_e32 v7, v3
	v_nop
	s_delay_alu instid0(TRANS32_DEP_1) | instskip(NEXT) | instid1(VALU_DEP_1)
	v_fma_f32 v8, -v3, v7, 1.0
	v_fmac_f32_e32 v7, v8, v7
	v_div_scale_f32 v8, vcc_lo, 1.0, v1, 1.0
	s_delay_alu instid0(VALU_DEP_1) | instskip(NEXT) | instid1(VALU_DEP_1)
	v_mul_f32_e32 v9, v8, v7
	v_fma_f32 v10, -v3, v9, v8
	s_delay_alu instid0(VALU_DEP_1) | instskip(NEXT) | instid1(VALU_DEP_1)
	v_fmac_f32_e32 v9, v10, v7
	v_fma_f32 v3, -v3, v9, v8
	s_delay_alu instid0(VALU_DEP_1) | instskip(NEXT) | instid1(VALU_DEP_1)
	v_div_fmas_f32 v3, v3, v7, v9
	v_div_fixup_f32 v1, v3, v1, 1.0
	s_delay_alu instid0(VALU_DEP_1)
	v_mul_f32_e32 v1, v6, v1
	s_and_not1_b32 vcc_lo, exec_lo, s3
	s_cbranch_vccz .LBB1_7
	s_branch .LBB1_8
.LBB1_6:
                                        ; implicit-def: $vgpr1
.LBB1_7:
	v_mul_f32_e32 v1, 0xbfb8aa3b, v2
	v_cmp_nlt_f32_e32 vcc_lo, 0x42ce8ed0, v2
	s_delay_alu instid0(VALU_DEP_2) | instskip(SKIP_1) | instid1(VALU_DEP_1)
	v_rndne_f32_e32 v3, v1
	v_fma_f32 v6, 0xbfb8aa3b, v2, -v1
	v_dual_sub_f32 v1, v1, v3 :: v_dual_fmamk_f32 v6, v2, 0xb2a5705f, v6
	v_cvt_i32_f32_e32 v3, v3
	s_delay_alu instid0(VALU_DEP_2) | instskip(NEXT) | instid1(VALU_DEP_1)
	v_add_f32_e32 v1, v1, v6
	v_exp_f32_e32 v1, v1
	v_nop
	s_delay_alu instid0(TRANS32_DEP_1) | instskip(NEXT) | instid1(VALU_DEP_1)
	v_ldexp_f32 v1, v1, v3
	v_cndmask_b32_e32 v1, 0, v1, vcc_lo
	v_cmp_ngt_f32_e32 vcc_lo, 0xc2b17218, v2
	s_delay_alu instid0(VALU_DEP_2) | instskip(NEXT) | instid1(VALU_DEP_1)
	v_cndmask_b32_e32 v1, 0x7f800000, v1, vcc_lo
	v_add_f32_e32 v1, 1.0, v1
	s_delay_alu instid0(VALU_DEP_1) | instskip(NEXT) | instid1(VALU_DEP_1)
	v_div_scale_f32 v2, null, v1, v1, 1.0
	v_rcp_f32_e32 v3, v2
	v_nop
	s_delay_alu instid0(TRANS32_DEP_1) | instskip(NEXT) | instid1(VALU_DEP_1)
	v_fma_f32 v6, -v2, v3, 1.0
	v_fmac_f32_e32 v3, v6, v3
	v_div_scale_f32 v6, vcc_lo, 1.0, v1, 1.0
	s_delay_alu instid0(VALU_DEP_1) | instskip(NEXT) | instid1(VALU_DEP_1)
	v_mul_f32_e32 v7, v6, v3
	v_fma_f32 v8, -v2, v7, v6
	s_delay_alu instid0(VALU_DEP_1) | instskip(NEXT) | instid1(VALU_DEP_1)
	v_fmac_f32_e32 v7, v8, v3
	v_fma_f32 v2, -v2, v7, v6
	s_delay_alu instid0(VALU_DEP_1) | instskip(NEXT) | instid1(VALU_DEP_1)
	v_div_fmas_f32 v2, v2, v3, v7
	v_div_fixup_f32 v1, v2, v1, 1.0
.LBB1_8:
	s_delay_alu instid0(VALU_DEP_1)
	v_mov_b32_e32 v2, v1
.LBB1_9:
	s_delay_alu instid0(VALU_DEP_1)
	v_cmp_o_f32_e32 vcc_lo, v2, v2
	v_mov_b32_e32 v3, 0xff800000
	v_cndmask_b32_e32 v2, 0xff7fffff, v2, vcc_lo
	s_and_saveexec_b32 s3, s1
	s_cbranch_execz .LBB1_11
; %bb.10:
	s_wait_kmcnt 0x0
	global_load_b32 v1, v12, s[10:11] scale_offset
	s_wait_loadcnt 0x0
	v_add_f32_e32 v3, v2, v1
.LBB1_11:
	s_or_b32 exec_lo, exec_lo, s3
	s_lshr_b32 s1, s2, 8
	s_cmp_gt_i32 s13, 0
	s_mov_b32 s2, 0
	s_cbranch_scc1 .LBB1_13
; %bb.12:
	s_bitcmp1_b32 s1, 0
	s_cselect_b32 s3, -1, 0
	s_branch .LBB1_14
.LBB1_13:
	s_mov_b32 s2, -1
                                        ; implicit-def: $sgpr3
.LBB1_14:
	v_dual_mov_b32 v14, 0 :: v_dual_mov_b32 v13, 0
	v_mbcnt_lo_u32_b32 v1, -1, 0
	s_and_not1_b32 vcc_lo, exec_lo, s2
	s_cbranch_vccnz .LBB1_33
; %bb.15:
	s_delay_alu instid0(VALU_DEP_1)
	v_xor_b32_e32 v7, 8, v1
	v_xor_b32_e32 v6, 16, v1
	s_wait_kmcnt 0x0
	v_lshl_add_u64 v[4:5], v[4:5], 2, s[8:9]
	v_mov_b32_e32 v13, 0
	s_bitcmp1_b32 s1, 0
	s_mov_b32 s4, 0
	v_cmp_gt_i32_e32 vcc_lo, 32, v6
	s_cselect_b32 s3, -1, 0
	v_dual_mov_b32 v14, 0 :: v_dual_cndmask_b32 v6, v1, v6, vcc_lo
	v_cmp_gt_i32_e32 vcc_lo, 32, v7
	s_delay_alu instid0(VALU_DEP_2) | instskip(SKIP_1) | instid1(VALU_DEP_1)
	v_dual_lshlrev_b32 v15, 2, v6 :: v_dual_bitop2_b32 v10, 1, v1 bitop3:0x14
	v_dual_cndmask_b32 v7, v1, v7, vcc_lo :: v_dual_bitop2_b32 v8, 4, v1 bitop3:0x14
	v_cmp_gt_i32_e32 vcc_lo, 32, v8
	s_delay_alu instid0(VALU_DEP_2) | instskip(SKIP_1) | instid1(VALU_DEP_2)
	v_dual_lshlrev_b32 v16, 2, v7 :: v_dual_bitop2_b32 v9, 2, v1 bitop3:0x14
	v_cndmask_b32_e32 v8, v1, v8, vcc_lo
	v_cmp_gt_i32_e32 vcc_lo, 32, v9
	v_cndmask_b32_e32 v9, v1, v9, vcc_lo
	v_cmp_gt_i32_e32 vcc_lo, 32, v10
	s_delay_alu instid0(VALU_DEP_2) | instskip(SKIP_1) | instid1(VALU_DEP_1)
	v_dual_lshlrev_b32 v17, 2, v8 :: v_dual_lshlrev_b32 v18, 2, v9
	v_cndmask_b32_e32 v10, v1, v10, vcc_lo
	v_lshlrev_b32_e32 v19, 2, v10
	s_branch .LBB1_17
.LBB1_16:                               ;   in Loop: Header=BB1_17 Depth=1
	s_wait_xcnt 0x0
	s_or_b32 exec_lo, exec_lo, s1
	s_and_b32 s1, s4, 31
	v_cndmask_b32_e64 v3, v3, 0xff800000, vcc_lo
	v_cmp_eq_u32_e32 vcc_lo, s1, v12
	v_add_nc_u64_e32 v[4:5], 4, v[4:5]
	s_add_co_i32 s4, s4, 1
	s_delay_alu instid0(SALU_CYCLE_1)
	s_cmp_eq_u32 s13, s4
	v_cndmask_b32_e32 v13, v13, v6, vcc_lo
	s_cbranch_scc1 .LBB1_33
.LBB1_17:                               ; =>This Inner Loop Header: Depth=1
	ds_bpermute_b32 v9, v15, v3
	ds_bpermute_b32 v10, v15, v12
	;; [unrolled: 1-line block ×3, first 2 shown]
	v_mov_b64_e32 v[6:7], v[2:3]
	v_dual_mov_b32 v20, v3 :: v_dual_mov_b32 v22, v2
	v_mov_b32_e32 v21, v12
	s_wait_dscnt 0x2
	v_cmp_eq_f32_e64 s1, v3, v9
	s_wait_dscnt 0x1
	v_cmp_lt_i32_e64 s2, v10, v12
	v_cmp_lt_f32_e32 vcc_lo, v3, v9
	s_and_b32 s1, s1, s2
	s_delay_alu instid0(SALU_CYCLE_1) | instskip(NEXT) | instid1(SALU_CYCLE_1)
	s_or_b32 s2, vcc_lo, s1
	s_and_saveexec_b32 s1, s2
	s_cbranch_execz .LBB1_19
; %bb.18:                               ;   in Loop: Header=BB1_17 Depth=1
	s_wait_dscnt 0x0
	v_mov_b64_e32 v[6:7], v[8:9]
	v_dual_mov_b32 v20, v9 :: v_dual_mov_b32 v22, v8
	v_mov_b32_e32 v21, v10
.LBB1_19:                               ;   in Loop: Header=BB1_17 Depth=1
	s_or_b32 exec_lo, exec_lo, s1
	ds_bpermute_b32 v24, v16, v20
	ds_bpermute_b32 v10, v16, v22
	;; [unrolled: 1-line block ×3, first 2 shown]
	s_mov_b32 s5, exec_lo
	s_wait_dscnt 0x2
	v_cmp_lt_f32_e64 s2, v7, v24
	v_cmpx_nlt_f32_e32 v7, v24
	s_cbranch_execz .LBB1_21
; %bb.20:                               ;   in Loop: Header=BB1_17 Depth=1
	v_cmp_eq_f32_e32 vcc_lo, v7, v24
	s_wait_dscnt 0x0
	v_cmp_lt_i32_e64 s1, v23, v21
	s_and_not1_b32 s2, s2, exec_lo
	s_and_b32 s1, vcc_lo, s1
	s_delay_alu instid0(SALU_CYCLE_1) | instskip(NEXT) | instid1(SALU_CYCLE_1)
	s_and_b32 s1, s1, exec_lo
	s_or_b32 s2, s2, s1
.LBB1_21:                               ;   in Loop: Header=BB1_17 Depth=1
	s_or_b32 exec_lo, exec_lo, s5
	v_mov_b64_e32 v[8:9], v[6:7]
	s_and_saveexec_b32 s1, s2
	s_cbranch_execz .LBB1_23
; %bb.22:                               ;   in Loop: Header=BB1_17 Depth=1
	s_wait_dscnt 0x1
	v_mov_b64_e32 v[8:9], v[10:11]
	v_dual_mov_b32 v7, v24 :: v_dual_mov_b32 v20, v24
	s_wait_dscnt 0x0
	v_dual_mov_b32 v22, v10 :: v_dual_mov_b32 v21, v23
.LBB1_23:                               ;   in Loop: Header=BB1_17 Depth=1
	s_or_b32 exec_lo, exec_lo, s1
	s_wait_dscnt 0x1
	ds_bpermute_b32 v10, v17, v20
	ds_bpermute_b32 v6, v17, v22
	ds_bpermute_b32 v9, v17, v21
	s_mov_b32 s5, exec_lo
	s_wait_dscnt 0x2
	v_cmp_lt_f32_e64 s2, v7, v10
	v_cmpx_nlt_f32_e32 v7, v10
	s_cbranch_execz .LBB1_25
; %bb.24:                               ;   in Loop: Header=BB1_17 Depth=1
	v_cmp_eq_f32_e32 vcc_lo, v7, v10
	s_wait_dscnt 0x0
	v_cmp_lt_i32_e64 s1, v9, v21
	s_and_not1_b32 s2, s2, exec_lo
	s_and_b32 s1, vcc_lo, s1
	s_delay_alu instid0(SALU_CYCLE_1) | instskip(NEXT) | instid1(SALU_CYCLE_1)
	s_and_b32 s1, s1, exec_lo
	s_or_b32 s2, s2, s1
.LBB1_25:                               ;   in Loop: Header=BB1_17 Depth=1
	s_or_b32 exec_lo, exec_lo, s5
	s_and_saveexec_b32 s1, s2
	s_cbranch_execz .LBB1_27
; %bb.26:                               ;   in Loop: Header=BB1_17 Depth=1
	v_dual_mov_b32 v7, v10 :: v_dual_mov_b32 v20, v10
	s_wait_dscnt 0x0
	v_dual_mov_b32 v22, v6 :: v_dual_mov_b32 v21, v9
	s_delay_alu instid0(VALU_DEP_2)
	v_mov_b64_e32 v[8:9], v[6:7]
.LBB1_27:                               ;   in Loop: Header=BB1_17 Depth=1
	s_or_b32 exec_lo, exec_lo, s1
	ds_bpermute_b32 v10, v18, v20
	s_wait_dscnt 0x2
	ds_bpermute_b32 v6, v18, v22
	s_wait_dscnt 0x2
	ds_bpermute_b32 v9, v18, v21
	s_mov_b32 s5, exec_lo
	s_wait_dscnt 0x2
	v_cmp_lt_f32_e64 s2, v7, v10
	v_cmpx_nlt_f32_e32 v7, v10
	s_cbranch_execz .LBB1_29
; %bb.28:                               ;   in Loop: Header=BB1_17 Depth=1
	v_cmp_eq_f32_e32 vcc_lo, v7, v10
	s_wait_dscnt 0x0
	v_cmp_lt_i32_e64 s1, v9, v21
	s_and_not1_b32 s2, s2, exec_lo
	s_and_b32 s1, vcc_lo, s1
	s_delay_alu instid0(SALU_CYCLE_1) | instskip(NEXT) | instid1(SALU_CYCLE_1)
	s_and_b32 s1, s1, exec_lo
	s_or_b32 s2, s2, s1
.LBB1_29:                               ;   in Loop: Header=BB1_17 Depth=1
	s_or_b32 exec_lo, exec_lo, s5
	s_and_saveexec_b32 s1, s2
	s_cbranch_execz .LBB1_31
; %bb.30:                               ;   in Loop: Header=BB1_17 Depth=1
	v_dual_mov_b32 v7, v10 :: v_dual_mov_b32 v20, v10
	s_wait_dscnt 0x0
	v_dual_mov_b32 v22, v6 :: v_dual_mov_b32 v21, v9
	s_delay_alu instid0(VALU_DEP_2)
	v_mov_b64_e32 v[8:9], v[6:7]
.LBB1_31:                               ;   in Loop: Header=BB1_17 Depth=1
	s_or_b32 exec_lo, exec_lo, s1
	s_wait_dscnt 0x1
	ds_bpermute_b32 v6, v19, v20
	s_wait_dscnt 0x1
	ds_bpermute_b32 v9, v19, v21
	ds_bpermute_b32 v10, v19, v22
	s_wait_dscnt 0x2
	v_cmp_eq_f32_e32 vcc_lo, v7, v6
	s_wait_dscnt 0x1
	v_cmp_lt_i32_e64 s1, v9, v21
	v_cmp_lt_f32_e64 s2, v7, v6
	s_and_b32 s1, vcc_lo, s1
	s_delay_alu instid0(SALU_CYCLE_1) | instskip(SKIP_2) | instid1(VALU_DEP_1)
	s_or_b32 vcc_lo, s2, s1
	s_wait_dscnt 0x0
	v_dual_cndmask_b32 v6, v8, v10 :: v_dual_cndmask_b32 v7, v21, v9
	v_and_b32_e32 v8, 31, v7
	s_delay_alu instid0(VALU_DEP_1)
	v_cmp_eq_u32_e32 vcc_lo, v8, v12
	s_and_saveexec_b32 s1, vcc_lo
	s_cbranch_execz .LBB1_16
; %bb.32:                               ;   in Loop: Header=BB1_17 Depth=1
	v_add_f32_e32 v8, v14, v6
	global_store_b32 v[4:5], v7, off
	v_cndmask_b32_e64 v14, v14, v8, s3
	s_branch .LBB1_16
.LBB1_33:
	s_and_b32 vcc_lo, exec_lo, s3
	s_cbranch_vccnz .LBB1_38
; %bb.34:
	v_cmp_gt_i32_e64 s1, s13, v12
	s_and_not1_b32 vcc_lo, exec_lo, s0
	s_cbranch_vccz .LBB1_39
.LBB1_35:
	v_cmp_gt_i32_e32 vcc_lo, s13, v12
	s_and_b32 exec_lo, exec_lo, vcc_lo
	s_cbranch_execz .LBB1_37
.LBB1_36:
	v_mul_lo_u32 v2, v11, s13
	s_wait_dscnt 0x0
	s_delay_alu instid0(VALU_DEP_1) | instskip(SKIP_1) | instid1(VALU_DEP_1)
	v_dual_mov_b32 v1, 0 :: v_dual_ashrrev_i32 v3, 31, v2
	s_wait_kmcnt 0x0
	v_lshl_add_u64 v[2:3], v[2:3], 2, s[6:7]
	s_delay_alu instid0(VALU_DEP_1)
	v_add_nc_u64_e32 v[0:1], v[2:3], v[0:1]
	v_mul_f32_e32 v2, s15, v13
	global_store_b32 v[0:1], v2, off
.LBB1_37:
	s_endpgm
.LBB1_38:
	v_xor_b32_e32 v3, 8, v1
	v_xor_b32_e32 v2, 16, v1
	;; [unrolled: 1-line block ×3, first 2 shown]
	s_delay_alu instid0(VALU_DEP_2) | instskip(SKIP_4) | instid1(VALU_DEP_2)
	v_cmp_gt_i32_e32 vcc_lo, 32, v2
	v_cndmask_b32_e32 v2, v1, v2, vcc_lo
	v_cmp_gt_i32_e32 vcc_lo, 32, v3
	v_cndmask_b32_e32 v3, v1, v3, vcc_lo
	v_cmp_gt_i32_e32 vcc_lo, 32, v4
	v_dual_lshlrev_b32 v3, 2, v3 :: v_dual_lshlrev_b32 v2, 2, v2
	ds_bpermute_b32 v2, v2, v14
	s_wait_dscnt 0x0
	v_add_f32_e32 v2, v14, v2
	ds_bpermute_b32 v3, v3, v2
	s_wait_dscnt 0x0
	v_dual_cndmask_b32 v4, v1, v4, vcc_lo :: v_dual_add_f32 v2, v2, v3
	s_delay_alu instid0(VALU_DEP_1) | instskip(SKIP_3) | instid1(VALU_DEP_1)
	v_lshlrev_b32_e32 v4, 2, v4
	ds_bpermute_b32 v3, v4, v2
	s_wait_dscnt 0x0
	v_dual_add_f32 v2, v2, v3 :: v_dual_bitop2_b32 v4, 2, v1 bitop3:0x14
	v_cmp_gt_i32_e32 vcc_lo, 32, v4
	v_cndmask_b32_e32 v4, v1, v4, vcc_lo
	s_delay_alu instid0(VALU_DEP_1) | instskip(SKIP_2) | instid1(VALU_DEP_1)
	v_lshlrev_b32_e32 v4, 2, v4
	ds_bpermute_b32 v3, v4, v2
	v_xor_b32_e32 v4, 1, v1
	v_cmp_gt_i32_e32 vcc_lo, 32, v4
	v_cndmask_b32_e32 v4, v1, v4, vcc_lo
	s_wait_dscnt 0x0
	s_delay_alu instid0(VALU_DEP_1) | instskip(SKIP_4) | instid1(VALU_DEP_1)
	v_dual_lshlrev_b32 v4, 2, v4 :: v_dual_add_f32 v2, v2, v3
	ds_bpermute_b32 v3, v4, v2
	v_max_num_f32_e64 v4, s14, s14
	s_wait_dscnt 0x0
	v_add_f32_e32 v2, v2, v3
	v_max_num_f32_e32 v2, v2, v4
	s_delay_alu instid0(VALU_DEP_1) | instskip(NEXT) | instid1(VALU_DEP_1)
	v_div_scale_f32 v3, null, v2, v2, 1.0
	v_rcp_f32_e32 v4, v3
	v_nop
	s_delay_alu instid0(TRANS32_DEP_1) | instskip(NEXT) | instid1(VALU_DEP_1)
	v_fma_f32 v5, -v3, v4, 1.0
	v_fmac_f32_e32 v4, v5, v4
	v_div_scale_f32 v5, vcc_lo, 1.0, v2, 1.0
	s_delay_alu instid0(VALU_DEP_1) | instskip(NEXT) | instid1(VALU_DEP_1)
	v_mul_f32_e32 v6, v5, v4
	v_fma_f32 v7, -v3, v6, v5
	s_delay_alu instid0(VALU_DEP_1) | instskip(NEXT) | instid1(VALU_DEP_1)
	v_fmac_f32_e32 v6, v7, v4
	v_fma_f32 v3, -v3, v6, v5
	s_delay_alu instid0(VALU_DEP_1) | instskip(NEXT) | instid1(VALU_DEP_1)
	v_div_fmas_f32 v3, v3, v4, v6
	v_div_fixup_f32 v2, v3, v2, 1.0
	s_delay_alu instid0(VALU_DEP_1)
	v_mul_f32_e32 v13, v2, v13
	v_cmp_gt_i32_e64 s1, s13, v12
	s_and_not1_b32 vcc_lo, exec_lo, s0
	s_cbranch_vccnz .LBB1_35
.LBB1_39:
	v_xor_b32_e32 v3, 16, v1
	v_xor_b32_e32 v5, 8, v1
	;; [unrolled: 1-line block ×3, first 2 shown]
	s_delay_alu instid0(VALU_DEP_3) | instskip(SKIP_3) | instid1(VALU_DEP_2)
	v_cmp_gt_i32_e32 vcc_lo, 32, v3
	v_cndmask_b32_e32 v3, v1, v3, vcc_lo
	v_max_num_f32_e32 v2, v13, v13
	v_cmp_gt_i32_e32 vcc_lo, 32, v5
	v_dual_max_num_f32 v2, 0xff800000, v2 :: v_dual_lshlrev_b32 v3, 2, v3
	v_cndmask_b32_e32 v5, v1, v5, vcc_lo
	s_delay_alu instid0(VALU_DEP_2) | instskip(SKIP_3) | instid1(VALU_DEP_1)
	v_cndmask_b32_e64 v2, 0xff800000, v2, s1
	ds_bpermute_b32 v4, v3, v2
	s_wait_dscnt 0x0
	v_dual_max_num_f32 v4, v4, v4 :: v_dual_lshlrev_b32 v5, 2, v5
	v_max_num_f32_e32 v2, v2, v4
	ds_bpermute_b32 v4, v5, v2
	s_wait_dscnt 0x0
	v_dual_max_num_f32 v4, v4, v4 :: v_dual_bitop2_b32 v6, 4, v1 bitop3:0x14
	s_delay_alu instid0(VALU_DEP_1) | instskip(NEXT) | instid1(VALU_DEP_2)
	v_cmp_gt_i32_e32 vcc_lo, 32, v6
	v_dual_max_num_f32 v2, v2, v4 :: v_dual_cndmask_b32 v6, v1, v6, vcc_lo
	v_cmp_gt_i32_e32 vcc_lo, 32, v7
	s_delay_alu instid0(VALU_DEP_2) | instskip(SKIP_3) | instid1(VALU_DEP_1)
	v_lshlrev_b32_e32 v6, 2, v6
	ds_bpermute_b32 v4, v6, v2
	s_wait_dscnt 0x0
	v_dual_cndmask_b32 v7, v1, v7 :: v_dual_max_num_f32 v4, v4, v4
	v_dual_max_num_f32 v2, v2, v4 :: v_dual_lshlrev_b32 v7, 2, v7
	ds_bpermute_b32 v4, v7, v2
	s_wait_dscnt 0x0
	v_dual_max_num_f32 v4, v4, v4 :: v_dual_bitop2_b32 v8, 1, v1 bitop3:0x14
	s_delay_alu instid0(VALU_DEP_1) | instskip(SKIP_1) | instid1(VALU_DEP_1)
	v_cmp_gt_i32_e32 vcc_lo, 32, v8
	v_cndmask_b32_e32 v1, v1, v8, vcc_lo
	v_dual_max_num_f32 v1, v2, v4 :: v_dual_lshlrev_b32 v8, 2, v1
	ds_bpermute_b32 v2, v8, v1
	s_wait_dscnt 0x0
	v_max_num_f32_e32 v2, v2, v2
	s_delay_alu instid0(VALU_DEP_1) | instskip(NEXT) | instid1(VALU_DEP_1)
	v_max_num_f32_e32 v1, v1, v2
	v_dual_sub_f32 v1, v13, v1 :: v_dual_mov_b32 v13, 0
	s_delay_alu instid0(VALU_DEP_1) | instskip(NEXT) | instid1(VALU_DEP_1)
	v_mul_f32_e32 v2, 0x3fb8aa3b, v1
	v_fma_f32 v4, 0x3fb8aa3b, v1, -v2
	v_rndne_f32_e32 v9, v2
	s_delay_alu instid0(VALU_DEP_2) | instskip(NEXT) | instid1(VALU_DEP_2)
	v_fmamk_f32 v4, v1, 0x32a5705f, v4
	v_sub_f32_e32 v2, v2, v9
	s_delay_alu instid0(VALU_DEP_1) | instskip(SKIP_2) | instid1(VALU_DEP_3)
	v_add_f32_e32 v2, v2, v4
	v_cvt_i32_f32_e32 v4, v9
	v_cmp_ngt_f32_e32 vcc_lo, 0xc2ce8ed0, v1
	v_exp_f32_e32 v2, v2
	v_nop
	s_delay_alu instid0(TRANS32_DEP_1) | instskip(NEXT) | instid1(VALU_DEP_1)
	v_ldexp_f32 v2, v2, v4
	v_cndmask_b32_e32 v2, 0, v2, vcc_lo
	v_cmp_nlt_f32_e32 vcc_lo, 0x42b17218, v1
	s_delay_alu instid0(VALU_DEP_2) | instskip(NEXT) | instid1(VALU_DEP_1)
	v_cndmask_b32_e32 v1, 0x7f800000, v2, vcc_lo
	v_cndmask_b32_e64 v2, 0, v1, s1
	ds_bpermute_b32 v3, v3, v2
	s_wait_dscnt 0x0
	v_add_f32_e32 v2, v2, v3
	ds_bpermute_b32 v3, v5, v2
	s_wait_dscnt 0x0
	v_add_f32_e32 v2, v2, v3
	;; [unrolled: 3-line block ×4, first 2 shown]
	ds_bpermute_b32 v3, v8, v2
	s_and_saveexec_b32 s0, s1
	s_cbranch_execz .LBB1_41
; %bb.40:
	s_wait_dscnt 0x0
	v_add_f32_e32 v2, v2, v3
	s_delay_alu instid0(VALU_DEP_1) | instskip(NEXT) | instid1(VALU_DEP_1)
	v_div_scale_f32 v3, null, v2, v2, 1.0
	v_rcp_f32_e32 v4, v3
	v_nop
	s_delay_alu instid0(TRANS32_DEP_1) | instskip(NEXT) | instid1(VALU_DEP_1)
	v_fma_f32 v5, -v3, v4, 1.0
	v_fmac_f32_e32 v4, v5, v4
	v_div_scale_f32 v5, vcc_lo, 1.0, v2, 1.0
	s_delay_alu instid0(VALU_DEP_1) | instskip(NEXT) | instid1(VALU_DEP_1)
	v_mul_f32_e32 v6, v5, v4
	v_fma_f32 v7, -v3, v6, v5
	s_delay_alu instid0(VALU_DEP_1) | instskip(NEXT) | instid1(VALU_DEP_1)
	v_fmac_f32_e32 v6, v7, v4
	v_fma_f32 v3, -v3, v6, v5
	s_delay_alu instid0(VALU_DEP_1) | instskip(NEXT) | instid1(VALU_DEP_1)
	v_div_fmas_f32 v3, v3, v4, v6
	v_div_fixup_f32 v2, v3, v2, 1.0
	s_delay_alu instid0(VALU_DEP_1)
	v_mul_f32_e32 v13, v1, v2
.LBB1_41:
	s_or_b32 exec_lo, exec_lo, s0
	v_cmp_gt_i32_e32 vcc_lo, s13, v12
	s_and_b32 exec_lo, exec_lo, vcc_lo
	s_cbranch_execnz .LBB1_36
	s_branch .LBB1_37
	.section	.rodata,"a",@progbits
	.p2align	6, 0x0
	.amdhsa_kernel _Z13topk_moe_cudaILi2ELb1EEvPKfPfPiS2_iiff15topk_moe_config
		.amdhsa_group_segment_fixed_size 0
		.amdhsa_private_segment_fixed_size 0
		.amdhsa_kernarg_size 312
		.amdhsa_user_sgpr_count 2
		.amdhsa_user_sgpr_dispatch_ptr 0
		.amdhsa_user_sgpr_queue_ptr 0
		.amdhsa_user_sgpr_kernarg_segment_ptr 1
		.amdhsa_user_sgpr_dispatch_id 0
		.amdhsa_user_sgpr_kernarg_preload_length 0
		.amdhsa_user_sgpr_kernarg_preload_offset 0
		.amdhsa_user_sgpr_private_segment_size 0
		.amdhsa_wavefront_size32 1
		.amdhsa_uses_dynamic_stack 0
		.amdhsa_enable_private_segment 0
		.amdhsa_system_sgpr_workgroup_id_x 1
		.amdhsa_system_sgpr_workgroup_id_y 0
		.amdhsa_system_sgpr_workgroup_id_z 0
		.amdhsa_system_sgpr_workgroup_info 0
		.amdhsa_system_vgpr_workitem_id 1
		.amdhsa_next_free_vgpr 25
		.amdhsa_next_free_sgpr 16
		.amdhsa_named_barrier_count 0
		.amdhsa_reserve_vcc 1
		.amdhsa_float_round_mode_32 0
		.amdhsa_float_round_mode_16_64 0
		.amdhsa_float_denorm_mode_32 3
		.amdhsa_float_denorm_mode_16_64 3
		.amdhsa_fp16_overflow 0
		.amdhsa_memory_ordered 1
		.amdhsa_forward_progress 1
		.amdhsa_inst_pref_size 24
		.amdhsa_round_robin_scheduling 0
		.amdhsa_exception_fp_ieee_invalid_op 0
		.amdhsa_exception_fp_denorm_src 0
		.amdhsa_exception_fp_ieee_div_zero 0
		.amdhsa_exception_fp_ieee_overflow 0
		.amdhsa_exception_fp_ieee_underflow 0
		.amdhsa_exception_fp_ieee_inexact 0
		.amdhsa_exception_int_div_zero 0
	.end_amdhsa_kernel
	.section	.text._Z13topk_moe_cudaILi2ELb1EEvPKfPfPiS2_iiff15topk_moe_config,"axG",@progbits,_Z13topk_moe_cudaILi2ELb1EEvPKfPfPiS2_iiff15topk_moe_config,comdat
.Lfunc_end1:
	.size	_Z13topk_moe_cudaILi2ELb1EEvPKfPfPiS2_iiff15topk_moe_config, .Lfunc_end1-_Z13topk_moe_cudaILi2ELb1EEvPKfPfPiS2_iiff15topk_moe_config
                                        ; -- End function
	.set _Z13topk_moe_cudaILi2ELb1EEvPKfPfPiS2_iiff15topk_moe_config.num_vgpr, 25
	.set _Z13topk_moe_cudaILi2ELb1EEvPKfPfPiS2_iiff15topk_moe_config.num_agpr, 0
	.set _Z13topk_moe_cudaILi2ELb1EEvPKfPfPiS2_iiff15topk_moe_config.numbered_sgpr, 16
	.set _Z13topk_moe_cudaILi2ELb1EEvPKfPfPiS2_iiff15topk_moe_config.num_named_barrier, 0
	.set _Z13topk_moe_cudaILi2ELb1EEvPKfPfPiS2_iiff15topk_moe_config.private_seg_size, 0
	.set _Z13topk_moe_cudaILi2ELb1EEvPKfPfPiS2_iiff15topk_moe_config.uses_vcc, 1
	.set _Z13topk_moe_cudaILi2ELb1EEvPKfPfPiS2_iiff15topk_moe_config.uses_flat_scratch, 0
	.set _Z13topk_moe_cudaILi2ELb1EEvPKfPfPiS2_iiff15topk_moe_config.has_dyn_sized_stack, 0
	.set _Z13topk_moe_cudaILi2ELb1EEvPKfPfPiS2_iiff15topk_moe_config.has_recursion, 0
	.set _Z13topk_moe_cudaILi2ELb1EEvPKfPfPiS2_iiff15topk_moe_config.has_indirect_call, 0
	.section	.AMDGPU.csdata,"",@progbits
; Kernel info:
; codeLenInByte = 3028
; TotalNumSgprs: 18
; NumVgprs: 25
; ScratchSize: 0
; MemoryBound: 0
; FloatMode: 240
; IeeeMode: 1
; LDSByteSize: 0 bytes/workgroup (compile time only)
; SGPRBlocks: 0
; VGPRBlocks: 1
; NumSGPRsForWavesPerEU: 18
; NumVGPRsForWavesPerEU: 25
; NamedBarCnt: 0
; Occupancy: 16
; WaveLimiterHint : 0
; COMPUTE_PGM_RSRC2:SCRATCH_EN: 0
; COMPUTE_PGM_RSRC2:USER_SGPR: 2
; COMPUTE_PGM_RSRC2:TRAP_HANDLER: 0
; COMPUTE_PGM_RSRC2:TGID_X_EN: 1
; COMPUTE_PGM_RSRC2:TGID_Y_EN: 0
; COMPUTE_PGM_RSRC2:TGID_Z_EN: 0
; COMPUTE_PGM_RSRC2:TIDIG_COMP_CNT: 1
	.section	.text._Z13topk_moe_cudaILi4ELb1EEvPKfPfPiS2_iiff15topk_moe_config,"axG",@progbits,_Z13topk_moe_cudaILi4ELb1EEvPKfPfPiS2_iiff15topk_moe_config,comdat
	.protected	_Z13topk_moe_cudaILi4ELb1EEvPKfPfPiS2_iiff15topk_moe_config ; -- Begin function _Z13topk_moe_cudaILi4ELb1EEvPKfPfPiS2_iiff15topk_moe_config
	.globl	_Z13topk_moe_cudaILi4ELb1EEvPKfPfPiS2_iiff15topk_moe_config
	.p2align	8
	.type	_Z13topk_moe_cudaILi4ELb1EEvPKfPfPiS2_iiff15topk_moe_config,@function
_Z13topk_moe_cudaILi4ELb1EEvPKfPfPiS2_iiff15topk_moe_config: ; @_Z13topk_moe_cudaILi4ELb1EEvPKfPfPiS2_iiff15topk_moe_config
; %bb.0:
	s_clause 0x1
	s_load_u16 s2, s[0:1], 0x46
	s_load_b128 s[12:15], s[0:1], 0x20
	s_bfe_u32 s3, ttmp6, 0x4000c
	s_and_b32 s4, ttmp6, 15
	s_add_co_i32 s3, s3, 1
	v_bfe_u32 v1, v0, 10, 10
	s_mul_i32 s3, ttmp9, s3
	s_delay_alu instid0(SALU_CYCLE_1) | instskip(SKIP_1) | instid1(SALU_CYCLE_1)
	s_add_co_i32 s4, s4, s3
	s_getreg_b32 s3, hwreg(HW_REG_IB_STS2, 6, 4)
	s_cmp_eq_u32 s3, 0
	s_cselect_b32 s3, ttmp9, s4
	s_wait_kmcnt 0x0
	v_mad_u32 v11, s3, s2, v1
	s_mov_b32 s2, exec_lo
	s_delay_alu instid0(VALU_DEP_1)
	v_cmpx_gt_i32_e64 s12, v11
	s_cbranch_execz .LBB2_37
; %bb.1:
	v_dual_mov_b32 v1, 0 :: v_dual_lshlrev_b32 v4, 2, v11
	s_load_b256 s[4:11], s[0:1], 0x0
	v_and_b32_e32 v12, 0x3ff, v0
	v_mov_b32_e32 v2, 0xff800000
	s_clause 0x1
	global_load_u16 v3, v1, s[0:1] offset:48
	global_load_i8 v6, v1, s[0:1] offset:50
	v_ashrrev_i32_e32 v5, 31, v4
	s_wait_xcnt 0x0
	v_cmp_gt_u32_e64 s1, 4, v12
	v_lshlrev_b32_e32 v0, 2, v12
	s_wait_loadcnt 0x1
	v_readfirstlane_b32 s2, v3
	s_and_saveexec_b32 s0, s1
	s_cbranch_execz .LBB2_3
; %bb.2:
	s_wait_kmcnt 0x0
	v_lshl_add_u64 v[8:9], v[4:5], 2, s[4:5]
	s_delay_alu instid0(VALU_DEP_1)
	v_add_nc_u64_e32 v[8:9], v[8:9], v[0:1]
	global_load_b32 v2, v[8:9], off
.LBB2_3:
	s_wait_xcnt 0x0
	s_or_b32 exec_lo, exec_lo, s0
	s_wait_loadcnt 0x0
	v_and_b32_e32 v1, 1, v6
	s_delay_alu instid0(VALU_DEP_1)
	v_cmp_eq_u32_e64 s0, 1, v1
	s_and_b32 vcc_lo, exec_lo, s0
	s_cbranch_vccnz .LBB2_9
; %bb.4:
	v_and_b32_e32 v1, 1, v3
	s_mov_b32 s3, 0
	s_delay_alu instid0(VALU_DEP_1)
	v_cmp_eq_u32_e32 vcc_lo, 0, v1
	s_cbranch_vccz .LBB2_6
; %bb.5:
	v_mbcnt_lo_u32_b32 v1, -1, 0
	s_delay_alu instid0(VALU_DEP_1) | instskip(SKIP_1) | instid1(VALU_DEP_2)
	v_dual_max_num_f32 v6, v2, v2 :: v_dual_bitop2_b32 v3, 16, v1 bitop3:0x14
	v_xor_b32_e32 v10, 2, v1
	v_max_num_f32_e32 v6, 0xff800000, v6
	v_xor_b32_e32 v8, 8, v1
	s_delay_alu instid0(VALU_DEP_4) | instskip(SKIP_1) | instid1(VALU_DEP_3)
	v_cmp_gt_i32_e32 vcc_lo, 32, v3
	v_cndmask_b32_e32 v3, v1, v3, vcc_lo
	v_cmp_gt_i32_e32 vcc_lo, 32, v8
	s_delay_alu instid0(VALU_DEP_2) | instskip(SKIP_3) | instid1(VALU_DEP_1)
	v_lshlrev_b32_e32 v3, 2, v3
	ds_bpermute_b32 v7, v3, v6
	s_wait_dscnt 0x0
	v_dual_cndmask_b32 v8, v1, v8 :: v_dual_max_num_f32 v7, v7, v7
	v_dual_lshlrev_b32 v8, 2, v8 :: v_dual_max_num_f32 v6, v6, v7
	ds_bpermute_b32 v7, v8, v6
	s_wait_dscnt 0x0
	v_dual_max_num_f32 v7, v7, v7 :: v_dual_bitop2_b32 v9, 4, v1 bitop3:0x14
	s_delay_alu instid0(VALU_DEP_1) | instskip(NEXT) | instid1(VALU_DEP_2)
	v_cmp_gt_i32_e32 vcc_lo, 32, v9
	v_dual_max_num_f32 v6, v6, v7 :: v_dual_cndmask_b32 v9, v1, v9
	v_cmp_gt_i32_e32 vcc_lo, 32, v10
	s_delay_alu instid0(VALU_DEP_2) | instskip(SKIP_3) | instid1(VALU_DEP_1)
	v_dual_cndmask_b32 v10, v1, v10 :: v_dual_lshlrev_b32 v9, 2, v9
	ds_bpermute_b32 v7, v9, v6
	s_wait_dscnt 0x0
	v_dual_max_num_f32 v7, v7, v7 :: v_dual_lshlrev_b32 v10, 2, v10
	v_max_num_f32_e32 v6, v6, v7
	ds_bpermute_b32 v7, v10, v6
	s_wait_dscnt 0x0
	v_dual_max_num_f32 v7, v7, v7 :: v_dual_bitop2_b32 v13, 1, v1 bitop3:0x14
	s_delay_alu instid0(VALU_DEP_1) | instskip(NEXT) | instid1(VALU_DEP_2)
	v_cmp_gt_i32_e32 vcc_lo, 32, v13
	v_dual_max_num_f32 v6, v6, v7 :: v_dual_cndmask_b32 v1, v1, v13
	s_delay_alu instid0(VALU_DEP_1) | instskip(SKIP_3) | instid1(VALU_DEP_1)
	v_lshlrev_b32_e32 v1, 2, v1
	ds_bpermute_b32 v7, v1, v6
	s_wait_dscnt 0x0
	v_max_num_f32_e32 v7, v7, v7
	v_max_num_f32_e32 v6, v6, v7
	s_delay_alu instid0(VALU_DEP_1) | instskip(NEXT) | instid1(VALU_DEP_1)
	v_sub_f32_e32 v6, v2, v6
	v_mul_f32_e32 v7, 0x3fb8aa3b, v6
	s_delay_alu instid0(VALU_DEP_1) | instskip(SKIP_1) | instid1(VALU_DEP_2)
	v_fma_f32 v13, 0x3fb8aa3b, v6, -v7
	v_rndne_f32_e32 v14, v7
	v_fmamk_f32 v13, v6, 0x32a5705f, v13
	s_delay_alu instid0(VALU_DEP_2) | instskip(NEXT) | instid1(VALU_DEP_1)
	v_sub_f32_e32 v7, v7, v14
	v_add_f32_e32 v7, v7, v13
	v_cvt_i32_f32_e32 v13, v14
	v_cmp_ngt_f32_e32 vcc_lo, 0xc2ce8ed0, v6
	s_delay_alu instid0(VALU_DEP_3) | instskip(SKIP_1) | instid1(TRANS32_DEP_1)
	v_exp_f32_e32 v7, v7
	v_nop
	v_ldexp_f32 v7, v7, v13
	s_delay_alu instid0(VALU_DEP_1) | instskip(SKIP_1) | instid1(VALU_DEP_2)
	v_cndmask_b32_e32 v7, 0, v7, vcc_lo
	v_cmp_nlt_f32_e32 vcc_lo, 0x42b17218, v6
	v_cndmask_b32_e32 v6, 0x7f800000, v7, vcc_lo
	ds_bpermute_b32 v3, v3, v6
	s_wait_dscnt 0x0
	v_add_f32_e32 v3, v6, v3
	ds_bpermute_b32 v7, v8, v3
	s_wait_dscnt 0x0
	v_add_f32_e32 v3, v3, v7
	;; [unrolled: 3-line block ×5, first 2 shown]
	s_delay_alu instid0(VALU_DEP_1) | instskip(NEXT) | instid1(VALU_DEP_1)
	v_div_scale_f32 v3, null, v1, v1, 1.0
	v_rcp_f32_e32 v7, v3
	v_nop
	s_delay_alu instid0(TRANS32_DEP_1) | instskip(NEXT) | instid1(VALU_DEP_1)
	v_fma_f32 v8, -v3, v7, 1.0
	v_fmac_f32_e32 v7, v8, v7
	v_div_scale_f32 v8, vcc_lo, 1.0, v1, 1.0
	s_delay_alu instid0(VALU_DEP_1) | instskip(NEXT) | instid1(VALU_DEP_1)
	v_mul_f32_e32 v9, v8, v7
	v_fma_f32 v10, -v3, v9, v8
	s_delay_alu instid0(VALU_DEP_1) | instskip(NEXT) | instid1(VALU_DEP_1)
	v_fmac_f32_e32 v9, v10, v7
	v_fma_f32 v3, -v3, v9, v8
	s_delay_alu instid0(VALU_DEP_1) | instskip(NEXT) | instid1(VALU_DEP_1)
	v_div_fmas_f32 v3, v3, v7, v9
	v_div_fixup_f32 v1, v3, v1, 1.0
	s_delay_alu instid0(VALU_DEP_1)
	v_mul_f32_e32 v1, v6, v1
	s_and_not1_b32 vcc_lo, exec_lo, s3
	s_cbranch_vccz .LBB2_7
	s_branch .LBB2_8
.LBB2_6:
                                        ; implicit-def: $vgpr1
.LBB2_7:
	v_mul_f32_e32 v1, 0xbfb8aa3b, v2
	v_cmp_nlt_f32_e32 vcc_lo, 0x42ce8ed0, v2
	s_delay_alu instid0(VALU_DEP_2) | instskip(SKIP_1) | instid1(VALU_DEP_1)
	v_rndne_f32_e32 v3, v1
	v_fma_f32 v6, 0xbfb8aa3b, v2, -v1
	v_dual_sub_f32 v1, v1, v3 :: v_dual_fmamk_f32 v6, v2, 0xb2a5705f, v6
	v_cvt_i32_f32_e32 v3, v3
	s_delay_alu instid0(VALU_DEP_2) | instskip(NEXT) | instid1(VALU_DEP_1)
	v_add_f32_e32 v1, v1, v6
	v_exp_f32_e32 v1, v1
	v_nop
	s_delay_alu instid0(TRANS32_DEP_1) | instskip(NEXT) | instid1(VALU_DEP_1)
	v_ldexp_f32 v1, v1, v3
	v_cndmask_b32_e32 v1, 0, v1, vcc_lo
	v_cmp_ngt_f32_e32 vcc_lo, 0xc2b17218, v2
	s_delay_alu instid0(VALU_DEP_2) | instskip(NEXT) | instid1(VALU_DEP_1)
	v_cndmask_b32_e32 v1, 0x7f800000, v1, vcc_lo
	v_add_f32_e32 v1, 1.0, v1
	s_delay_alu instid0(VALU_DEP_1) | instskip(NEXT) | instid1(VALU_DEP_1)
	v_div_scale_f32 v2, null, v1, v1, 1.0
	v_rcp_f32_e32 v3, v2
	v_nop
	s_delay_alu instid0(TRANS32_DEP_1) | instskip(NEXT) | instid1(VALU_DEP_1)
	v_fma_f32 v6, -v2, v3, 1.0
	v_fmac_f32_e32 v3, v6, v3
	v_div_scale_f32 v6, vcc_lo, 1.0, v1, 1.0
	s_delay_alu instid0(VALU_DEP_1) | instskip(NEXT) | instid1(VALU_DEP_1)
	v_mul_f32_e32 v7, v6, v3
	v_fma_f32 v8, -v2, v7, v6
	s_delay_alu instid0(VALU_DEP_1) | instskip(NEXT) | instid1(VALU_DEP_1)
	v_fmac_f32_e32 v7, v8, v3
	v_fma_f32 v2, -v2, v7, v6
	s_delay_alu instid0(VALU_DEP_1) | instskip(NEXT) | instid1(VALU_DEP_1)
	v_div_fmas_f32 v2, v2, v3, v7
	v_div_fixup_f32 v1, v2, v1, 1.0
.LBB2_8:
	s_delay_alu instid0(VALU_DEP_1)
	v_mov_b32_e32 v2, v1
.LBB2_9:
	s_delay_alu instid0(VALU_DEP_1)
	v_cmp_o_f32_e32 vcc_lo, v2, v2
	v_mov_b32_e32 v3, 0xff800000
	v_cndmask_b32_e32 v2, 0xff7fffff, v2, vcc_lo
	s_and_saveexec_b32 s3, s1
	s_cbranch_execz .LBB2_11
; %bb.10:
	s_wait_kmcnt 0x0
	global_load_b32 v1, v12, s[10:11] scale_offset
	s_wait_loadcnt 0x0
	v_add_f32_e32 v3, v2, v1
.LBB2_11:
	s_or_b32 exec_lo, exec_lo, s3
	s_lshr_b32 s1, s2, 8
	s_cmp_gt_i32 s13, 0
	s_mov_b32 s2, 0
	s_cbranch_scc1 .LBB2_13
; %bb.12:
	s_bitcmp1_b32 s1, 0
	s_cselect_b32 s3, -1, 0
	s_branch .LBB2_14
.LBB2_13:
	s_mov_b32 s2, -1
                                        ; implicit-def: $sgpr3
.LBB2_14:
	v_dual_mov_b32 v14, 0 :: v_dual_mov_b32 v13, 0
	v_mbcnt_lo_u32_b32 v1, -1, 0
	s_and_not1_b32 vcc_lo, exec_lo, s2
	s_cbranch_vccnz .LBB2_33
; %bb.15:
	s_delay_alu instid0(VALU_DEP_1)
	v_xor_b32_e32 v7, 8, v1
	v_xor_b32_e32 v6, 16, v1
	s_wait_kmcnt 0x0
	v_lshl_add_u64 v[4:5], v[4:5], 2, s[8:9]
	v_mov_b32_e32 v13, 0
	s_bitcmp1_b32 s1, 0
	s_mov_b32 s4, 0
	v_cmp_gt_i32_e32 vcc_lo, 32, v6
	s_cselect_b32 s3, -1, 0
	v_dual_mov_b32 v14, 0 :: v_dual_cndmask_b32 v6, v1, v6, vcc_lo
	v_cmp_gt_i32_e32 vcc_lo, 32, v7
	s_delay_alu instid0(VALU_DEP_2) | instskip(SKIP_1) | instid1(VALU_DEP_1)
	v_dual_lshlrev_b32 v15, 2, v6 :: v_dual_bitop2_b32 v10, 1, v1 bitop3:0x14
	v_dual_cndmask_b32 v7, v1, v7, vcc_lo :: v_dual_bitop2_b32 v8, 4, v1 bitop3:0x14
	v_cmp_gt_i32_e32 vcc_lo, 32, v8
	s_delay_alu instid0(VALU_DEP_2) | instskip(SKIP_1) | instid1(VALU_DEP_2)
	v_dual_lshlrev_b32 v16, 2, v7 :: v_dual_bitop2_b32 v9, 2, v1 bitop3:0x14
	v_cndmask_b32_e32 v8, v1, v8, vcc_lo
	v_cmp_gt_i32_e32 vcc_lo, 32, v9
	v_cndmask_b32_e32 v9, v1, v9, vcc_lo
	v_cmp_gt_i32_e32 vcc_lo, 32, v10
	s_delay_alu instid0(VALU_DEP_2) | instskip(SKIP_1) | instid1(VALU_DEP_1)
	v_dual_lshlrev_b32 v17, 2, v8 :: v_dual_lshlrev_b32 v18, 2, v9
	v_cndmask_b32_e32 v10, v1, v10, vcc_lo
	v_lshlrev_b32_e32 v19, 2, v10
	s_branch .LBB2_17
.LBB2_16:                               ;   in Loop: Header=BB2_17 Depth=1
	s_wait_xcnt 0x0
	s_or_b32 exec_lo, exec_lo, s1
	s_and_b32 s1, s4, 31
	v_cndmask_b32_e64 v3, v3, 0xff800000, vcc_lo
	v_cmp_eq_u32_e32 vcc_lo, s1, v12
	v_add_nc_u64_e32 v[4:5], 4, v[4:5]
	s_add_co_i32 s4, s4, 1
	s_delay_alu instid0(SALU_CYCLE_1)
	s_cmp_eq_u32 s13, s4
	v_cndmask_b32_e32 v13, v13, v6, vcc_lo
	s_cbranch_scc1 .LBB2_33
.LBB2_17:                               ; =>This Inner Loop Header: Depth=1
	ds_bpermute_b32 v9, v15, v3
	ds_bpermute_b32 v10, v15, v12
	;; [unrolled: 1-line block ×3, first 2 shown]
	v_mov_b64_e32 v[6:7], v[2:3]
	v_dual_mov_b32 v20, v3 :: v_dual_mov_b32 v22, v2
	v_mov_b32_e32 v21, v12
	s_wait_dscnt 0x2
	v_cmp_eq_f32_e64 s1, v3, v9
	s_wait_dscnt 0x1
	v_cmp_lt_i32_e64 s2, v10, v12
	v_cmp_lt_f32_e32 vcc_lo, v3, v9
	s_and_b32 s1, s1, s2
	s_delay_alu instid0(SALU_CYCLE_1) | instskip(NEXT) | instid1(SALU_CYCLE_1)
	s_or_b32 s2, vcc_lo, s1
	s_and_saveexec_b32 s1, s2
	s_cbranch_execz .LBB2_19
; %bb.18:                               ;   in Loop: Header=BB2_17 Depth=1
	s_wait_dscnt 0x0
	v_mov_b64_e32 v[6:7], v[8:9]
	v_dual_mov_b32 v20, v9 :: v_dual_mov_b32 v22, v8
	v_mov_b32_e32 v21, v10
.LBB2_19:                               ;   in Loop: Header=BB2_17 Depth=1
	s_or_b32 exec_lo, exec_lo, s1
	ds_bpermute_b32 v24, v16, v20
	ds_bpermute_b32 v10, v16, v22
	;; [unrolled: 1-line block ×3, first 2 shown]
	s_mov_b32 s5, exec_lo
	s_wait_dscnt 0x2
	v_cmp_lt_f32_e64 s2, v7, v24
	v_cmpx_nlt_f32_e32 v7, v24
	s_cbranch_execz .LBB2_21
; %bb.20:                               ;   in Loop: Header=BB2_17 Depth=1
	v_cmp_eq_f32_e32 vcc_lo, v7, v24
	s_wait_dscnt 0x0
	v_cmp_lt_i32_e64 s1, v23, v21
	s_and_not1_b32 s2, s2, exec_lo
	s_and_b32 s1, vcc_lo, s1
	s_delay_alu instid0(SALU_CYCLE_1) | instskip(NEXT) | instid1(SALU_CYCLE_1)
	s_and_b32 s1, s1, exec_lo
	s_or_b32 s2, s2, s1
.LBB2_21:                               ;   in Loop: Header=BB2_17 Depth=1
	s_or_b32 exec_lo, exec_lo, s5
	v_mov_b64_e32 v[8:9], v[6:7]
	s_and_saveexec_b32 s1, s2
	s_cbranch_execz .LBB2_23
; %bb.22:                               ;   in Loop: Header=BB2_17 Depth=1
	s_wait_dscnt 0x1
	v_mov_b64_e32 v[8:9], v[10:11]
	v_dual_mov_b32 v7, v24 :: v_dual_mov_b32 v20, v24
	s_wait_dscnt 0x0
	v_dual_mov_b32 v22, v10 :: v_dual_mov_b32 v21, v23
.LBB2_23:                               ;   in Loop: Header=BB2_17 Depth=1
	s_or_b32 exec_lo, exec_lo, s1
	s_wait_dscnt 0x1
	ds_bpermute_b32 v10, v17, v20
	ds_bpermute_b32 v6, v17, v22
	ds_bpermute_b32 v9, v17, v21
	s_mov_b32 s5, exec_lo
	s_wait_dscnt 0x2
	v_cmp_lt_f32_e64 s2, v7, v10
	v_cmpx_nlt_f32_e32 v7, v10
	s_cbranch_execz .LBB2_25
; %bb.24:                               ;   in Loop: Header=BB2_17 Depth=1
	v_cmp_eq_f32_e32 vcc_lo, v7, v10
	s_wait_dscnt 0x0
	v_cmp_lt_i32_e64 s1, v9, v21
	s_and_not1_b32 s2, s2, exec_lo
	s_and_b32 s1, vcc_lo, s1
	s_delay_alu instid0(SALU_CYCLE_1) | instskip(NEXT) | instid1(SALU_CYCLE_1)
	s_and_b32 s1, s1, exec_lo
	s_or_b32 s2, s2, s1
.LBB2_25:                               ;   in Loop: Header=BB2_17 Depth=1
	s_or_b32 exec_lo, exec_lo, s5
	s_and_saveexec_b32 s1, s2
	s_cbranch_execz .LBB2_27
; %bb.26:                               ;   in Loop: Header=BB2_17 Depth=1
	v_dual_mov_b32 v7, v10 :: v_dual_mov_b32 v20, v10
	s_wait_dscnt 0x0
	v_dual_mov_b32 v22, v6 :: v_dual_mov_b32 v21, v9
	s_delay_alu instid0(VALU_DEP_2)
	v_mov_b64_e32 v[8:9], v[6:7]
.LBB2_27:                               ;   in Loop: Header=BB2_17 Depth=1
	s_or_b32 exec_lo, exec_lo, s1
	ds_bpermute_b32 v10, v18, v20
	s_wait_dscnt 0x2
	ds_bpermute_b32 v6, v18, v22
	s_wait_dscnt 0x2
	ds_bpermute_b32 v9, v18, v21
	s_mov_b32 s5, exec_lo
	s_wait_dscnt 0x2
	v_cmp_lt_f32_e64 s2, v7, v10
	v_cmpx_nlt_f32_e32 v7, v10
	s_cbranch_execz .LBB2_29
; %bb.28:                               ;   in Loop: Header=BB2_17 Depth=1
	v_cmp_eq_f32_e32 vcc_lo, v7, v10
	s_wait_dscnt 0x0
	v_cmp_lt_i32_e64 s1, v9, v21
	s_and_not1_b32 s2, s2, exec_lo
	s_and_b32 s1, vcc_lo, s1
	s_delay_alu instid0(SALU_CYCLE_1) | instskip(NEXT) | instid1(SALU_CYCLE_1)
	s_and_b32 s1, s1, exec_lo
	s_or_b32 s2, s2, s1
.LBB2_29:                               ;   in Loop: Header=BB2_17 Depth=1
	s_or_b32 exec_lo, exec_lo, s5
	s_and_saveexec_b32 s1, s2
	s_cbranch_execz .LBB2_31
; %bb.30:                               ;   in Loop: Header=BB2_17 Depth=1
	v_dual_mov_b32 v7, v10 :: v_dual_mov_b32 v20, v10
	s_wait_dscnt 0x0
	v_dual_mov_b32 v22, v6 :: v_dual_mov_b32 v21, v9
	s_delay_alu instid0(VALU_DEP_2)
	v_mov_b64_e32 v[8:9], v[6:7]
.LBB2_31:                               ;   in Loop: Header=BB2_17 Depth=1
	s_or_b32 exec_lo, exec_lo, s1
	s_wait_dscnt 0x1
	ds_bpermute_b32 v6, v19, v20
	s_wait_dscnt 0x1
	ds_bpermute_b32 v9, v19, v21
	ds_bpermute_b32 v10, v19, v22
	s_wait_dscnt 0x2
	v_cmp_eq_f32_e32 vcc_lo, v7, v6
	s_wait_dscnt 0x1
	v_cmp_lt_i32_e64 s1, v9, v21
	v_cmp_lt_f32_e64 s2, v7, v6
	s_and_b32 s1, vcc_lo, s1
	s_delay_alu instid0(SALU_CYCLE_1) | instskip(SKIP_2) | instid1(VALU_DEP_1)
	s_or_b32 vcc_lo, s2, s1
	s_wait_dscnt 0x0
	v_dual_cndmask_b32 v6, v8, v10 :: v_dual_cndmask_b32 v7, v21, v9
	v_and_b32_e32 v8, 31, v7
	s_delay_alu instid0(VALU_DEP_1)
	v_cmp_eq_u32_e32 vcc_lo, v8, v12
	s_and_saveexec_b32 s1, vcc_lo
	s_cbranch_execz .LBB2_16
; %bb.32:                               ;   in Loop: Header=BB2_17 Depth=1
	v_add_f32_e32 v8, v14, v6
	global_store_b32 v[4:5], v7, off
	v_cndmask_b32_e64 v14, v14, v8, s3
	s_branch .LBB2_16
.LBB2_33:
	s_and_b32 vcc_lo, exec_lo, s3
	s_cbranch_vccnz .LBB2_38
; %bb.34:
	v_cmp_gt_i32_e64 s1, s13, v12
	s_and_not1_b32 vcc_lo, exec_lo, s0
	s_cbranch_vccz .LBB2_39
.LBB2_35:
	v_cmp_gt_i32_e32 vcc_lo, s13, v12
	s_and_b32 exec_lo, exec_lo, vcc_lo
	s_cbranch_execz .LBB2_37
.LBB2_36:
	v_mul_lo_u32 v2, v11, s13
	s_wait_dscnt 0x0
	s_delay_alu instid0(VALU_DEP_1) | instskip(SKIP_1) | instid1(VALU_DEP_1)
	v_dual_mov_b32 v1, 0 :: v_dual_ashrrev_i32 v3, 31, v2
	s_wait_kmcnt 0x0
	v_lshl_add_u64 v[2:3], v[2:3], 2, s[6:7]
	s_delay_alu instid0(VALU_DEP_1)
	v_add_nc_u64_e32 v[0:1], v[2:3], v[0:1]
	v_mul_f32_e32 v2, s15, v13
	global_store_b32 v[0:1], v2, off
.LBB2_37:
	s_endpgm
.LBB2_38:
	v_xor_b32_e32 v3, 8, v1
	v_xor_b32_e32 v2, 16, v1
	;; [unrolled: 1-line block ×3, first 2 shown]
	s_delay_alu instid0(VALU_DEP_2) | instskip(SKIP_4) | instid1(VALU_DEP_2)
	v_cmp_gt_i32_e32 vcc_lo, 32, v2
	v_cndmask_b32_e32 v2, v1, v2, vcc_lo
	v_cmp_gt_i32_e32 vcc_lo, 32, v3
	v_cndmask_b32_e32 v3, v1, v3, vcc_lo
	v_cmp_gt_i32_e32 vcc_lo, 32, v4
	v_dual_lshlrev_b32 v3, 2, v3 :: v_dual_lshlrev_b32 v2, 2, v2
	ds_bpermute_b32 v2, v2, v14
	s_wait_dscnt 0x0
	v_add_f32_e32 v2, v14, v2
	ds_bpermute_b32 v3, v3, v2
	s_wait_dscnt 0x0
	v_dual_cndmask_b32 v4, v1, v4, vcc_lo :: v_dual_add_f32 v2, v2, v3
	s_delay_alu instid0(VALU_DEP_1) | instskip(SKIP_3) | instid1(VALU_DEP_1)
	v_lshlrev_b32_e32 v4, 2, v4
	ds_bpermute_b32 v3, v4, v2
	s_wait_dscnt 0x0
	v_dual_add_f32 v2, v2, v3 :: v_dual_bitop2_b32 v4, 2, v1 bitop3:0x14
	v_cmp_gt_i32_e32 vcc_lo, 32, v4
	v_cndmask_b32_e32 v4, v1, v4, vcc_lo
	s_delay_alu instid0(VALU_DEP_1) | instskip(SKIP_2) | instid1(VALU_DEP_1)
	v_lshlrev_b32_e32 v4, 2, v4
	ds_bpermute_b32 v3, v4, v2
	v_xor_b32_e32 v4, 1, v1
	v_cmp_gt_i32_e32 vcc_lo, 32, v4
	v_cndmask_b32_e32 v4, v1, v4, vcc_lo
	s_wait_dscnt 0x0
	s_delay_alu instid0(VALU_DEP_1) | instskip(SKIP_4) | instid1(VALU_DEP_1)
	v_dual_lshlrev_b32 v4, 2, v4 :: v_dual_add_f32 v2, v2, v3
	ds_bpermute_b32 v3, v4, v2
	v_max_num_f32_e64 v4, s14, s14
	s_wait_dscnt 0x0
	v_add_f32_e32 v2, v2, v3
	v_max_num_f32_e32 v2, v2, v4
	s_delay_alu instid0(VALU_DEP_1) | instskip(NEXT) | instid1(VALU_DEP_1)
	v_div_scale_f32 v3, null, v2, v2, 1.0
	v_rcp_f32_e32 v4, v3
	v_nop
	s_delay_alu instid0(TRANS32_DEP_1) | instskip(NEXT) | instid1(VALU_DEP_1)
	v_fma_f32 v5, -v3, v4, 1.0
	v_fmac_f32_e32 v4, v5, v4
	v_div_scale_f32 v5, vcc_lo, 1.0, v2, 1.0
	s_delay_alu instid0(VALU_DEP_1) | instskip(NEXT) | instid1(VALU_DEP_1)
	v_mul_f32_e32 v6, v5, v4
	v_fma_f32 v7, -v3, v6, v5
	s_delay_alu instid0(VALU_DEP_1) | instskip(NEXT) | instid1(VALU_DEP_1)
	v_fmac_f32_e32 v6, v7, v4
	v_fma_f32 v3, -v3, v6, v5
	s_delay_alu instid0(VALU_DEP_1) | instskip(NEXT) | instid1(VALU_DEP_1)
	v_div_fmas_f32 v3, v3, v4, v6
	v_div_fixup_f32 v2, v3, v2, 1.0
	s_delay_alu instid0(VALU_DEP_1)
	v_mul_f32_e32 v13, v2, v13
	v_cmp_gt_i32_e64 s1, s13, v12
	s_and_not1_b32 vcc_lo, exec_lo, s0
	s_cbranch_vccnz .LBB2_35
.LBB2_39:
	v_xor_b32_e32 v3, 16, v1
	v_xor_b32_e32 v5, 8, v1
	;; [unrolled: 1-line block ×3, first 2 shown]
	s_delay_alu instid0(VALU_DEP_3) | instskip(SKIP_3) | instid1(VALU_DEP_2)
	v_cmp_gt_i32_e32 vcc_lo, 32, v3
	v_cndmask_b32_e32 v3, v1, v3, vcc_lo
	v_max_num_f32_e32 v2, v13, v13
	v_cmp_gt_i32_e32 vcc_lo, 32, v5
	v_dual_max_num_f32 v2, 0xff800000, v2 :: v_dual_lshlrev_b32 v3, 2, v3
	v_cndmask_b32_e32 v5, v1, v5, vcc_lo
	s_delay_alu instid0(VALU_DEP_2) | instskip(SKIP_3) | instid1(VALU_DEP_1)
	v_cndmask_b32_e64 v2, 0xff800000, v2, s1
	ds_bpermute_b32 v4, v3, v2
	s_wait_dscnt 0x0
	v_dual_max_num_f32 v4, v4, v4 :: v_dual_lshlrev_b32 v5, 2, v5
	v_max_num_f32_e32 v2, v2, v4
	ds_bpermute_b32 v4, v5, v2
	s_wait_dscnt 0x0
	v_dual_max_num_f32 v4, v4, v4 :: v_dual_bitop2_b32 v6, 4, v1 bitop3:0x14
	s_delay_alu instid0(VALU_DEP_1) | instskip(NEXT) | instid1(VALU_DEP_2)
	v_cmp_gt_i32_e32 vcc_lo, 32, v6
	v_dual_max_num_f32 v2, v2, v4 :: v_dual_cndmask_b32 v6, v1, v6, vcc_lo
	v_cmp_gt_i32_e32 vcc_lo, 32, v7
	s_delay_alu instid0(VALU_DEP_2) | instskip(SKIP_3) | instid1(VALU_DEP_1)
	v_lshlrev_b32_e32 v6, 2, v6
	ds_bpermute_b32 v4, v6, v2
	s_wait_dscnt 0x0
	v_dual_cndmask_b32 v7, v1, v7 :: v_dual_max_num_f32 v4, v4, v4
	v_dual_max_num_f32 v2, v2, v4 :: v_dual_lshlrev_b32 v7, 2, v7
	ds_bpermute_b32 v4, v7, v2
	s_wait_dscnt 0x0
	v_dual_max_num_f32 v4, v4, v4 :: v_dual_bitop2_b32 v8, 1, v1 bitop3:0x14
	s_delay_alu instid0(VALU_DEP_1) | instskip(SKIP_1) | instid1(VALU_DEP_1)
	v_cmp_gt_i32_e32 vcc_lo, 32, v8
	v_cndmask_b32_e32 v1, v1, v8, vcc_lo
	v_dual_max_num_f32 v1, v2, v4 :: v_dual_lshlrev_b32 v8, 2, v1
	ds_bpermute_b32 v2, v8, v1
	s_wait_dscnt 0x0
	v_max_num_f32_e32 v2, v2, v2
	s_delay_alu instid0(VALU_DEP_1) | instskip(NEXT) | instid1(VALU_DEP_1)
	v_max_num_f32_e32 v1, v1, v2
	v_dual_sub_f32 v1, v13, v1 :: v_dual_mov_b32 v13, 0
	s_delay_alu instid0(VALU_DEP_1) | instskip(NEXT) | instid1(VALU_DEP_1)
	v_mul_f32_e32 v2, 0x3fb8aa3b, v1
	v_fma_f32 v4, 0x3fb8aa3b, v1, -v2
	v_rndne_f32_e32 v9, v2
	s_delay_alu instid0(VALU_DEP_2) | instskip(NEXT) | instid1(VALU_DEP_2)
	v_fmamk_f32 v4, v1, 0x32a5705f, v4
	v_sub_f32_e32 v2, v2, v9
	s_delay_alu instid0(VALU_DEP_1) | instskip(SKIP_2) | instid1(VALU_DEP_3)
	v_add_f32_e32 v2, v2, v4
	v_cvt_i32_f32_e32 v4, v9
	v_cmp_ngt_f32_e32 vcc_lo, 0xc2ce8ed0, v1
	v_exp_f32_e32 v2, v2
	v_nop
	s_delay_alu instid0(TRANS32_DEP_1) | instskip(NEXT) | instid1(VALU_DEP_1)
	v_ldexp_f32 v2, v2, v4
	v_cndmask_b32_e32 v2, 0, v2, vcc_lo
	v_cmp_nlt_f32_e32 vcc_lo, 0x42b17218, v1
	s_delay_alu instid0(VALU_DEP_2) | instskip(NEXT) | instid1(VALU_DEP_1)
	v_cndmask_b32_e32 v1, 0x7f800000, v2, vcc_lo
	v_cndmask_b32_e64 v2, 0, v1, s1
	ds_bpermute_b32 v3, v3, v2
	s_wait_dscnt 0x0
	v_add_f32_e32 v2, v2, v3
	ds_bpermute_b32 v3, v5, v2
	s_wait_dscnt 0x0
	v_add_f32_e32 v2, v2, v3
	ds_bpermute_b32 v3, v6, v2
	s_wait_dscnt 0x0
	v_add_f32_e32 v2, v2, v3
	ds_bpermute_b32 v3, v7, v2
	s_wait_dscnt 0x0
	v_add_f32_e32 v2, v2, v3
	ds_bpermute_b32 v3, v8, v2
	s_and_saveexec_b32 s0, s1
	s_cbranch_execz .LBB2_41
; %bb.40:
	s_wait_dscnt 0x0
	v_add_f32_e32 v2, v2, v3
	s_delay_alu instid0(VALU_DEP_1) | instskip(NEXT) | instid1(VALU_DEP_1)
	v_div_scale_f32 v3, null, v2, v2, 1.0
	v_rcp_f32_e32 v4, v3
	v_nop
	s_delay_alu instid0(TRANS32_DEP_1) | instskip(NEXT) | instid1(VALU_DEP_1)
	v_fma_f32 v5, -v3, v4, 1.0
	v_fmac_f32_e32 v4, v5, v4
	v_div_scale_f32 v5, vcc_lo, 1.0, v2, 1.0
	s_delay_alu instid0(VALU_DEP_1) | instskip(NEXT) | instid1(VALU_DEP_1)
	v_mul_f32_e32 v6, v5, v4
	v_fma_f32 v7, -v3, v6, v5
	s_delay_alu instid0(VALU_DEP_1) | instskip(NEXT) | instid1(VALU_DEP_1)
	v_fmac_f32_e32 v6, v7, v4
	v_fma_f32 v3, -v3, v6, v5
	s_delay_alu instid0(VALU_DEP_1) | instskip(NEXT) | instid1(VALU_DEP_1)
	v_div_fmas_f32 v3, v3, v4, v6
	v_div_fixup_f32 v2, v3, v2, 1.0
	s_delay_alu instid0(VALU_DEP_1)
	v_mul_f32_e32 v13, v1, v2
.LBB2_41:
	s_or_b32 exec_lo, exec_lo, s0
	v_cmp_gt_i32_e32 vcc_lo, s13, v12
	s_and_b32 exec_lo, exec_lo, vcc_lo
	s_cbranch_execnz .LBB2_36
	s_branch .LBB2_37
	.section	.rodata,"a",@progbits
	.p2align	6, 0x0
	.amdhsa_kernel _Z13topk_moe_cudaILi4ELb1EEvPKfPfPiS2_iiff15topk_moe_config
		.amdhsa_group_segment_fixed_size 0
		.amdhsa_private_segment_fixed_size 0
		.amdhsa_kernarg_size 312
		.amdhsa_user_sgpr_count 2
		.amdhsa_user_sgpr_dispatch_ptr 0
		.amdhsa_user_sgpr_queue_ptr 0
		.amdhsa_user_sgpr_kernarg_segment_ptr 1
		.amdhsa_user_sgpr_dispatch_id 0
		.amdhsa_user_sgpr_kernarg_preload_length 0
		.amdhsa_user_sgpr_kernarg_preload_offset 0
		.amdhsa_user_sgpr_private_segment_size 0
		.amdhsa_wavefront_size32 1
		.amdhsa_uses_dynamic_stack 0
		.amdhsa_enable_private_segment 0
		.amdhsa_system_sgpr_workgroup_id_x 1
		.amdhsa_system_sgpr_workgroup_id_y 0
		.amdhsa_system_sgpr_workgroup_id_z 0
		.amdhsa_system_sgpr_workgroup_info 0
		.amdhsa_system_vgpr_workitem_id 1
		.amdhsa_next_free_vgpr 25
		.amdhsa_next_free_sgpr 16
		.amdhsa_named_barrier_count 0
		.amdhsa_reserve_vcc 1
		.amdhsa_float_round_mode_32 0
		.amdhsa_float_round_mode_16_64 0
		.amdhsa_float_denorm_mode_32 3
		.amdhsa_float_denorm_mode_16_64 3
		.amdhsa_fp16_overflow 0
		.amdhsa_memory_ordered 1
		.amdhsa_forward_progress 1
		.amdhsa_inst_pref_size 24
		.amdhsa_round_robin_scheduling 0
		.amdhsa_exception_fp_ieee_invalid_op 0
		.amdhsa_exception_fp_denorm_src 0
		.amdhsa_exception_fp_ieee_div_zero 0
		.amdhsa_exception_fp_ieee_overflow 0
		.amdhsa_exception_fp_ieee_underflow 0
		.amdhsa_exception_fp_ieee_inexact 0
		.amdhsa_exception_int_div_zero 0
	.end_amdhsa_kernel
	.section	.text._Z13topk_moe_cudaILi4ELb1EEvPKfPfPiS2_iiff15topk_moe_config,"axG",@progbits,_Z13topk_moe_cudaILi4ELb1EEvPKfPfPiS2_iiff15topk_moe_config,comdat
.Lfunc_end2:
	.size	_Z13topk_moe_cudaILi4ELb1EEvPKfPfPiS2_iiff15topk_moe_config, .Lfunc_end2-_Z13topk_moe_cudaILi4ELb1EEvPKfPfPiS2_iiff15topk_moe_config
                                        ; -- End function
	.set _Z13topk_moe_cudaILi4ELb1EEvPKfPfPiS2_iiff15topk_moe_config.num_vgpr, 25
	.set _Z13topk_moe_cudaILi4ELb1EEvPKfPfPiS2_iiff15topk_moe_config.num_agpr, 0
	.set _Z13topk_moe_cudaILi4ELb1EEvPKfPfPiS2_iiff15topk_moe_config.numbered_sgpr, 16
	.set _Z13topk_moe_cudaILi4ELb1EEvPKfPfPiS2_iiff15topk_moe_config.num_named_barrier, 0
	.set _Z13topk_moe_cudaILi4ELb1EEvPKfPfPiS2_iiff15topk_moe_config.private_seg_size, 0
	.set _Z13topk_moe_cudaILi4ELb1EEvPKfPfPiS2_iiff15topk_moe_config.uses_vcc, 1
	.set _Z13topk_moe_cudaILi4ELb1EEvPKfPfPiS2_iiff15topk_moe_config.uses_flat_scratch, 0
	.set _Z13topk_moe_cudaILi4ELb1EEvPKfPfPiS2_iiff15topk_moe_config.has_dyn_sized_stack, 0
	.set _Z13topk_moe_cudaILi4ELb1EEvPKfPfPiS2_iiff15topk_moe_config.has_recursion, 0
	.set _Z13topk_moe_cudaILi4ELb1EEvPKfPfPiS2_iiff15topk_moe_config.has_indirect_call, 0
	.section	.AMDGPU.csdata,"",@progbits
; Kernel info:
; codeLenInByte = 3028
; TotalNumSgprs: 18
; NumVgprs: 25
; ScratchSize: 0
; MemoryBound: 0
; FloatMode: 240
; IeeeMode: 1
; LDSByteSize: 0 bytes/workgroup (compile time only)
; SGPRBlocks: 0
; VGPRBlocks: 1
; NumSGPRsForWavesPerEU: 18
; NumVGPRsForWavesPerEU: 25
; NamedBarCnt: 0
; Occupancy: 16
; WaveLimiterHint : 0
; COMPUTE_PGM_RSRC2:SCRATCH_EN: 0
; COMPUTE_PGM_RSRC2:USER_SGPR: 2
; COMPUTE_PGM_RSRC2:TRAP_HANDLER: 0
; COMPUTE_PGM_RSRC2:TGID_X_EN: 1
; COMPUTE_PGM_RSRC2:TGID_Y_EN: 0
; COMPUTE_PGM_RSRC2:TGID_Z_EN: 0
; COMPUTE_PGM_RSRC2:TIDIG_COMP_CNT: 1
	.section	.text._Z13topk_moe_cudaILi8ELb1EEvPKfPfPiS2_iiff15topk_moe_config,"axG",@progbits,_Z13topk_moe_cudaILi8ELb1EEvPKfPfPiS2_iiff15topk_moe_config,comdat
	.protected	_Z13topk_moe_cudaILi8ELb1EEvPKfPfPiS2_iiff15topk_moe_config ; -- Begin function _Z13topk_moe_cudaILi8ELb1EEvPKfPfPiS2_iiff15topk_moe_config
	.globl	_Z13topk_moe_cudaILi8ELb1EEvPKfPfPiS2_iiff15topk_moe_config
	.p2align	8
	.type	_Z13topk_moe_cudaILi8ELb1EEvPKfPfPiS2_iiff15topk_moe_config,@function
_Z13topk_moe_cudaILi8ELb1EEvPKfPfPiS2_iiff15topk_moe_config: ; @_Z13topk_moe_cudaILi8ELb1EEvPKfPfPiS2_iiff15topk_moe_config
; %bb.0:
	s_clause 0x1
	s_load_u16 s2, s[0:1], 0x46
	s_load_b128 s[12:15], s[0:1], 0x20
	s_bfe_u32 s3, ttmp6, 0x4000c
	s_and_b32 s4, ttmp6, 15
	s_add_co_i32 s3, s3, 1
	v_bfe_u32 v1, v0, 10, 10
	s_mul_i32 s3, ttmp9, s3
	s_delay_alu instid0(SALU_CYCLE_1) | instskip(SKIP_1) | instid1(SALU_CYCLE_1)
	s_add_co_i32 s4, s4, s3
	s_getreg_b32 s3, hwreg(HW_REG_IB_STS2, 6, 4)
	s_cmp_eq_u32 s3, 0
	s_cselect_b32 s3, ttmp9, s4
	s_wait_kmcnt 0x0
	v_mad_u32 v11, s3, s2, v1
	s_mov_b32 s2, exec_lo
	s_delay_alu instid0(VALU_DEP_1)
	v_cmpx_gt_i32_e64 s12, v11
	s_cbranch_execz .LBB3_37
; %bb.1:
	v_dual_mov_b32 v1, 0 :: v_dual_lshlrev_b32 v4, 3, v11
	s_load_b256 s[4:11], s[0:1], 0x0
	v_and_b32_e32 v12, 0x3ff, v0
	v_mov_b32_e32 v2, 0xff800000
	s_clause 0x1
	global_load_u16 v3, v1, s[0:1] offset:48
	global_load_i8 v6, v1, s[0:1] offset:50
	v_ashrrev_i32_e32 v5, 31, v4
	s_wait_xcnt 0x0
	v_cmp_gt_u32_e64 s1, 8, v12
	v_lshlrev_b32_e32 v0, 2, v12
	s_wait_loadcnt 0x1
	v_readfirstlane_b32 s2, v3
	s_and_saveexec_b32 s0, s1
	s_cbranch_execz .LBB3_3
; %bb.2:
	s_wait_kmcnt 0x0
	v_lshl_add_u64 v[8:9], v[4:5], 2, s[4:5]
	s_delay_alu instid0(VALU_DEP_1)
	v_add_nc_u64_e32 v[8:9], v[8:9], v[0:1]
	global_load_b32 v2, v[8:9], off
.LBB3_3:
	s_wait_xcnt 0x0
	s_or_b32 exec_lo, exec_lo, s0
	s_wait_loadcnt 0x0
	v_and_b32_e32 v1, 1, v6
	s_delay_alu instid0(VALU_DEP_1)
	v_cmp_eq_u32_e64 s0, 1, v1
	s_and_b32 vcc_lo, exec_lo, s0
	s_cbranch_vccnz .LBB3_9
; %bb.4:
	v_and_b32_e32 v1, 1, v3
	s_mov_b32 s3, 0
	s_delay_alu instid0(VALU_DEP_1)
	v_cmp_eq_u32_e32 vcc_lo, 0, v1
	s_cbranch_vccz .LBB3_6
; %bb.5:
	v_mbcnt_lo_u32_b32 v1, -1, 0
	s_delay_alu instid0(VALU_DEP_1) | instskip(SKIP_1) | instid1(VALU_DEP_2)
	v_dual_max_num_f32 v6, v2, v2 :: v_dual_bitop2_b32 v3, 16, v1 bitop3:0x14
	v_xor_b32_e32 v10, 2, v1
	v_max_num_f32_e32 v6, 0xff800000, v6
	v_xor_b32_e32 v8, 8, v1
	s_delay_alu instid0(VALU_DEP_4) | instskip(SKIP_1) | instid1(VALU_DEP_3)
	v_cmp_gt_i32_e32 vcc_lo, 32, v3
	v_cndmask_b32_e32 v3, v1, v3, vcc_lo
	v_cmp_gt_i32_e32 vcc_lo, 32, v8
	s_delay_alu instid0(VALU_DEP_2) | instskip(SKIP_3) | instid1(VALU_DEP_1)
	v_lshlrev_b32_e32 v3, 2, v3
	ds_bpermute_b32 v7, v3, v6
	s_wait_dscnt 0x0
	v_dual_cndmask_b32 v8, v1, v8 :: v_dual_max_num_f32 v7, v7, v7
	v_dual_lshlrev_b32 v8, 2, v8 :: v_dual_max_num_f32 v6, v6, v7
	ds_bpermute_b32 v7, v8, v6
	s_wait_dscnt 0x0
	v_dual_max_num_f32 v7, v7, v7 :: v_dual_bitop2_b32 v9, 4, v1 bitop3:0x14
	s_delay_alu instid0(VALU_DEP_1) | instskip(NEXT) | instid1(VALU_DEP_2)
	v_cmp_gt_i32_e32 vcc_lo, 32, v9
	v_dual_max_num_f32 v6, v6, v7 :: v_dual_cndmask_b32 v9, v1, v9
	v_cmp_gt_i32_e32 vcc_lo, 32, v10
	s_delay_alu instid0(VALU_DEP_2) | instskip(SKIP_3) | instid1(VALU_DEP_1)
	v_dual_cndmask_b32 v10, v1, v10 :: v_dual_lshlrev_b32 v9, 2, v9
	ds_bpermute_b32 v7, v9, v6
	s_wait_dscnt 0x0
	v_dual_max_num_f32 v7, v7, v7 :: v_dual_lshlrev_b32 v10, 2, v10
	v_max_num_f32_e32 v6, v6, v7
	ds_bpermute_b32 v7, v10, v6
	s_wait_dscnt 0x0
	v_dual_max_num_f32 v7, v7, v7 :: v_dual_bitop2_b32 v13, 1, v1 bitop3:0x14
	s_delay_alu instid0(VALU_DEP_1) | instskip(NEXT) | instid1(VALU_DEP_2)
	v_cmp_gt_i32_e32 vcc_lo, 32, v13
	v_dual_max_num_f32 v6, v6, v7 :: v_dual_cndmask_b32 v1, v1, v13
	s_delay_alu instid0(VALU_DEP_1) | instskip(SKIP_3) | instid1(VALU_DEP_1)
	v_lshlrev_b32_e32 v1, 2, v1
	ds_bpermute_b32 v7, v1, v6
	s_wait_dscnt 0x0
	v_max_num_f32_e32 v7, v7, v7
	v_max_num_f32_e32 v6, v6, v7
	s_delay_alu instid0(VALU_DEP_1) | instskip(NEXT) | instid1(VALU_DEP_1)
	v_sub_f32_e32 v6, v2, v6
	v_mul_f32_e32 v7, 0x3fb8aa3b, v6
	s_delay_alu instid0(VALU_DEP_1) | instskip(SKIP_1) | instid1(VALU_DEP_2)
	v_fma_f32 v13, 0x3fb8aa3b, v6, -v7
	v_rndne_f32_e32 v14, v7
	v_fmamk_f32 v13, v6, 0x32a5705f, v13
	s_delay_alu instid0(VALU_DEP_2) | instskip(NEXT) | instid1(VALU_DEP_1)
	v_sub_f32_e32 v7, v7, v14
	v_add_f32_e32 v7, v7, v13
	v_cvt_i32_f32_e32 v13, v14
	v_cmp_ngt_f32_e32 vcc_lo, 0xc2ce8ed0, v6
	s_delay_alu instid0(VALU_DEP_3) | instskip(SKIP_1) | instid1(TRANS32_DEP_1)
	v_exp_f32_e32 v7, v7
	v_nop
	v_ldexp_f32 v7, v7, v13
	s_delay_alu instid0(VALU_DEP_1) | instskip(SKIP_1) | instid1(VALU_DEP_2)
	v_cndmask_b32_e32 v7, 0, v7, vcc_lo
	v_cmp_nlt_f32_e32 vcc_lo, 0x42b17218, v6
	v_cndmask_b32_e32 v6, 0x7f800000, v7, vcc_lo
	ds_bpermute_b32 v3, v3, v6
	s_wait_dscnt 0x0
	v_add_f32_e32 v3, v6, v3
	ds_bpermute_b32 v7, v8, v3
	s_wait_dscnt 0x0
	v_add_f32_e32 v3, v3, v7
	;; [unrolled: 3-line block ×5, first 2 shown]
	s_delay_alu instid0(VALU_DEP_1) | instskip(NEXT) | instid1(VALU_DEP_1)
	v_div_scale_f32 v3, null, v1, v1, 1.0
	v_rcp_f32_e32 v7, v3
	v_nop
	s_delay_alu instid0(TRANS32_DEP_1) | instskip(NEXT) | instid1(VALU_DEP_1)
	v_fma_f32 v8, -v3, v7, 1.0
	v_fmac_f32_e32 v7, v8, v7
	v_div_scale_f32 v8, vcc_lo, 1.0, v1, 1.0
	s_delay_alu instid0(VALU_DEP_1) | instskip(NEXT) | instid1(VALU_DEP_1)
	v_mul_f32_e32 v9, v8, v7
	v_fma_f32 v10, -v3, v9, v8
	s_delay_alu instid0(VALU_DEP_1) | instskip(NEXT) | instid1(VALU_DEP_1)
	v_fmac_f32_e32 v9, v10, v7
	v_fma_f32 v3, -v3, v9, v8
	s_delay_alu instid0(VALU_DEP_1) | instskip(NEXT) | instid1(VALU_DEP_1)
	v_div_fmas_f32 v3, v3, v7, v9
	v_div_fixup_f32 v1, v3, v1, 1.0
	s_delay_alu instid0(VALU_DEP_1)
	v_mul_f32_e32 v1, v6, v1
	s_and_not1_b32 vcc_lo, exec_lo, s3
	s_cbranch_vccz .LBB3_7
	s_branch .LBB3_8
.LBB3_6:
                                        ; implicit-def: $vgpr1
.LBB3_7:
	v_mul_f32_e32 v1, 0xbfb8aa3b, v2
	v_cmp_nlt_f32_e32 vcc_lo, 0x42ce8ed0, v2
	s_delay_alu instid0(VALU_DEP_2) | instskip(SKIP_1) | instid1(VALU_DEP_1)
	v_rndne_f32_e32 v3, v1
	v_fma_f32 v6, 0xbfb8aa3b, v2, -v1
	v_dual_sub_f32 v1, v1, v3 :: v_dual_fmamk_f32 v6, v2, 0xb2a5705f, v6
	v_cvt_i32_f32_e32 v3, v3
	s_delay_alu instid0(VALU_DEP_2) | instskip(NEXT) | instid1(VALU_DEP_1)
	v_add_f32_e32 v1, v1, v6
	v_exp_f32_e32 v1, v1
	v_nop
	s_delay_alu instid0(TRANS32_DEP_1) | instskip(NEXT) | instid1(VALU_DEP_1)
	v_ldexp_f32 v1, v1, v3
	v_cndmask_b32_e32 v1, 0, v1, vcc_lo
	v_cmp_ngt_f32_e32 vcc_lo, 0xc2b17218, v2
	s_delay_alu instid0(VALU_DEP_2) | instskip(NEXT) | instid1(VALU_DEP_1)
	v_cndmask_b32_e32 v1, 0x7f800000, v1, vcc_lo
	v_add_f32_e32 v1, 1.0, v1
	s_delay_alu instid0(VALU_DEP_1) | instskip(NEXT) | instid1(VALU_DEP_1)
	v_div_scale_f32 v2, null, v1, v1, 1.0
	v_rcp_f32_e32 v3, v2
	v_nop
	s_delay_alu instid0(TRANS32_DEP_1) | instskip(NEXT) | instid1(VALU_DEP_1)
	v_fma_f32 v6, -v2, v3, 1.0
	v_fmac_f32_e32 v3, v6, v3
	v_div_scale_f32 v6, vcc_lo, 1.0, v1, 1.0
	s_delay_alu instid0(VALU_DEP_1) | instskip(NEXT) | instid1(VALU_DEP_1)
	v_mul_f32_e32 v7, v6, v3
	v_fma_f32 v8, -v2, v7, v6
	s_delay_alu instid0(VALU_DEP_1) | instskip(NEXT) | instid1(VALU_DEP_1)
	v_fmac_f32_e32 v7, v8, v3
	v_fma_f32 v2, -v2, v7, v6
	s_delay_alu instid0(VALU_DEP_1) | instskip(NEXT) | instid1(VALU_DEP_1)
	v_div_fmas_f32 v2, v2, v3, v7
	v_div_fixup_f32 v1, v2, v1, 1.0
.LBB3_8:
	s_delay_alu instid0(VALU_DEP_1)
	v_mov_b32_e32 v2, v1
.LBB3_9:
	s_delay_alu instid0(VALU_DEP_1)
	v_cmp_o_f32_e32 vcc_lo, v2, v2
	v_mov_b32_e32 v3, 0xff800000
	v_cndmask_b32_e32 v2, 0xff7fffff, v2, vcc_lo
	s_and_saveexec_b32 s3, s1
	s_cbranch_execz .LBB3_11
; %bb.10:
	s_wait_kmcnt 0x0
	global_load_b32 v1, v12, s[10:11] scale_offset
	s_wait_loadcnt 0x0
	v_add_f32_e32 v3, v2, v1
.LBB3_11:
	s_or_b32 exec_lo, exec_lo, s3
	s_lshr_b32 s1, s2, 8
	s_cmp_gt_i32 s13, 0
	s_mov_b32 s2, 0
	s_cbranch_scc1 .LBB3_13
; %bb.12:
	s_bitcmp1_b32 s1, 0
	s_cselect_b32 s3, -1, 0
	s_branch .LBB3_14
.LBB3_13:
	s_mov_b32 s2, -1
                                        ; implicit-def: $sgpr3
.LBB3_14:
	v_dual_mov_b32 v14, 0 :: v_dual_mov_b32 v13, 0
	v_mbcnt_lo_u32_b32 v1, -1, 0
	s_and_not1_b32 vcc_lo, exec_lo, s2
	s_cbranch_vccnz .LBB3_33
; %bb.15:
	s_delay_alu instid0(VALU_DEP_1)
	v_xor_b32_e32 v7, 8, v1
	v_xor_b32_e32 v6, 16, v1
	s_wait_kmcnt 0x0
	v_lshl_add_u64 v[4:5], v[4:5], 2, s[8:9]
	v_mov_b32_e32 v13, 0
	s_bitcmp1_b32 s1, 0
	s_mov_b32 s4, 0
	v_cmp_gt_i32_e32 vcc_lo, 32, v6
	s_cselect_b32 s3, -1, 0
	v_dual_mov_b32 v14, 0 :: v_dual_cndmask_b32 v6, v1, v6, vcc_lo
	v_cmp_gt_i32_e32 vcc_lo, 32, v7
	s_delay_alu instid0(VALU_DEP_2) | instskip(SKIP_1) | instid1(VALU_DEP_1)
	v_dual_lshlrev_b32 v15, 2, v6 :: v_dual_bitop2_b32 v10, 1, v1 bitop3:0x14
	v_dual_cndmask_b32 v7, v1, v7, vcc_lo :: v_dual_bitop2_b32 v8, 4, v1 bitop3:0x14
	v_cmp_gt_i32_e32 vcc_lo, 32, v8
	s_delay_alu instid0(VALU_DEP_2) | instskip(SKIP_1) | instid1(VALU_DEP_2)
	v_dual_lshlrev_b32 v16, 2, v7 :: v_dual_bitop2_b32 v9, 2, v1 bitop3:0x14
	v_cndmask_b32_e32 v8, v1, v8, vcc_lo
	v_cmp_gt_i32_e32 vcc_lo, 32, v9
	v_cndmask_b32_e32 v9, v1, v9, vcc_lo
	v_cmp_gt_i32_e32 vcc_lo, 32, v10
	s_delay_alu instid0(VALU_DEP_2) | instskip(SKIP_1) | instid1(VALU_DEP_1)
	v_dual_lshlrev_b32 v17, 2, v8 :: v_dual_lshlrev_b32 v18, 2, v9
	v_cndmask_b32_e32 v10, v1, v10, vcc_lo
	v_lshlrev_b32_e32 v19, 2, v10
	s_branch .LBB3_17
.LBB3_16:                               ;   in Loop: Header=BB3_17 Depth=1
	s_wait_xcnt 0x0
	s_or_b32 exec_lo, exec_lo, s1
	s_and_b32 s1, s4, 31
	v_cndmask_b32_e64 v3, v3, 0xff800000, vcc_lo
	v_cmp_eq_u32_e32 vcc_lo, s1, v12
	v_add_nc_u64_e32 v[4:5], 4, v[4:5]
	s_add_co_i32 s4, s4, 1
	s_delay_alu instid0(SALU_CYCLE_1)
	s_cmp_eq_u32 s13, s4
	v_cndmask_b32_e32 v13, v13, v6, vcc_lo
	s_cbranch_scc1 .LBB3_33
.LBB3_17:                               ; =>This Inner Loop Header: Depth=1
	ds_bpermute_b32 v9, v15, v3
	ds_bpermute_b32 v10, v15, v12
	;; [unrolled: 1-line block ×3, first 2 shown]
	v_mov_b64_e32 v[6:7], v[2:3]
	v_dual_mov_b32 v20, v3 :: v_dual_mov_b32 v22, v2
	v_mov_b32_e32 v21, v12
	s_wait_dscnt 0x2
	v_cmp_eq_f32_e64 s1, v3, v9
	s_wait_dscnt 0x1
	v_cmp_lt_i32_e64 s2, v10, v12
	v_cmp_lt_f32_e32 vcc_lo, v3, v9
	s_and_b32 s1, s1, s2
	s_delay_alu instid0(SALU_CYCLE_1) | instskip(NEXT) | instid1(SALU_CYCLE_1)
	s_or_b32 s2, vcc_lo, s1
	s_and_saveexec_b32 s1, s2
	s_cbranch_execz .LBB3_19
; %bb.18:                               ;   in Loop: Header=BB3_17 Depth=1
	s_wait_dscnt 0x0
	v_mov_b64_e32 v[6:7], v[8:9]
	v_dual_mov_b32 v20, v9 :: v_dual_mov_b32 v22, v8
	v_mov_b32_e32 v21, v10
.LBB3_19:                               ;   in Loop: Header=BB3_17 Depth=1
	s_or_b32 exec_lo, exec_lo, s1
	ds_bpermute_b32 v24, v16, v20
	ds_bpermute_b32 v10, v16, v22
	;; [unrolled: 1-line block ×3, first 2 shown]
	s_mov_b32 s5, exec_lo
	s_wait_dscnt 0x2
	v_cmp_lt_f32_e64 s2, v7, v24
	v_cmpx_nlt_f32_e32 v7, v24
	s_cbranch_execz .LBB3_21
; %bb.20:                               ;   in Loop: Header=BB3_17 Depth=1
	v_cmp_eq_f32_e32 vcc_lo, v7, v24
	s_wait_dscnt 0x0
	v_cmp_lt_i32_e64 s1, v23, v21
	s_and_not1_b32 s2, s2, exec_lo
	s_and_b32 s1, vcc_lo, s1
	s_delay_alu instid0(SALU_CYCLE_1) | instskip(NEXT) | instid1(SALU_CYCLE_1)
	s_and_b32 s1, s1, exec_lo
	s_or_b32 s2, s2, s1
.LBB3_21:                               ;   in Loop: Header=BB3_17 Depth=1
	s_or_b32 exec_lo, exec_lo, s5
	v_mov_b64_e32 v[8:9], v[6:7]
	s_and_saveexec_b32 s1, s2
	s_cbranch_execz .LBB3_23
; %bb.22:                               ;   in Loop: Header=BB3_17 Depth=1
	s_wait_dscnt 0x1
	v_mov_b64_e32 v[8:9], v[10:11]
	v_dual_mov_b32 v7, v24 :: v_dual_mov_b32 v20, v24
	s_wait_dscnt 0x0
	v_dual_mov_b32 v22, v10 :: v_dual_mov_b32 v21, v23
.LBB3_23:                               ;   in Loop: Header=BB3_17 Depth=1
	s_or_b32 exec_lo, exec_lo, s1
	s_wait_dscnt 0x1
	ds_bpermute_b32 v10, v17, v20
	ds_bpermute_b32 v6, v17, v22
	;; [unrolled: 1-line block ×3, first 2 shown]
	s_mov_b32 s5, exec_lo
	s_wait_dscnt 0x2
	v_cmp_lt_f32_e64 s2, v7, v10
	v_cmpx_nlt_f32_e32 v7, v10
	s_cbranch_execz .LBB3_25
; %bb.24:                               ;   in Loop: Header=BB3_17 Depth=1
	v_cmp_eq_f32_e32 vcc_lo, v7, v10
	s_wait_dscnt 0x0
	v_cmp_lt_i32_e64 s1, v9, v21
	s_and_not1_b32 s2, s2, exec_lo
	s_and_b32 s1, vcc_lo, s1
	s_delay_alu instid0(SALU_CYCLE_1) | instskip(NEXT) | instid1(SALU_CYCLE_1)
	s_and_b32 s1, s1, exec_lo
	s_or_b32 s2, s2, s1
.LBB3_25:                               ;   in Loop: Header=BB3_17 Depth=1
	s_or_b32 exec_lo, exec_lo, s5
	s_and_saveexec_b32 s1, s2
	s_cbranch_execz .LBB3_27
; %bb.26:                               ;   in Loop: Header=BB3_17 Depth=1
	v_dual_mov_b32 v7, v10 :: v_dual_mov_b32 v20, v10
	s_wait_dscnt 0x0
	v_dual_mov_b32 v22, v6 :: v_dual_mov_b32 v21, v9
	s_delay_alu instid0(VALU_DEP_2)
	v_mov_b64_e32 v[8:9], v[6:7]
.LBB3_27:                               ;   in Loop: Header=BB3_17 Depth=1
	s_or_b32 exec_lo, exec_lo, s1
	ds_bpermute_b32 v10, v18, v20
	s_wait_dscnt 0x2
	ds_bpermute_b32 v6, v18, v22
	s_wait_dscnt 0x2
	ds_bpermute_b32 v9, v18, v21
	s_mov_b32 s5, exec_lo
	s_wait_dscnt 0x2
	v_cmp_lt_f32_e64 s2, v7, v10
	v_cmpx_nlt_f32_e32 v7, v10
	s_cbranch_execz .LBB3_29
; %bb.28:                               ;   in Loop: Header=BB3_17 Depth=1
	v_cmp_eq_f32_e32 vcc_lo, v7, v10
	s_wait_dscnt 0x0
	v_cmp_lt_i32_e64 s1, v9, v21
	s_and_not1_b32 s2, s2, exec_lo
	s_and_b32 s1, vcc_lo, s1
	s_delay_alu instid0(SALU_CYCLE_1) | instskip(NEXT) | instid1(SALU_CYCLE_1)
	s_and_b32 s1, s1, exec_lo
	s_or_b32 s2, s2, s1
.LBB3_29:                               ;   in Loop: Header=BB3_17 Depth=1
	s_or_b32 exec_lo, exec_lo, s5
	s_and_saveexec_b32 s1, s2
	s_cbranch_execz .LBB3_31
; %bb.30:                               ;   in Loop: Header=BB3_17 Depth=1
	v_dual_mov_b32 v7, v10 :: v_dual_mov_b32 v20, v10
	s_wait_dscnt 0x0
	v_dual_mov_b32 v22, v6 :: v_dual_mov_b32 v21, v9
	s_delay_alu instid0(VALU_DEP_2)
	v_mov_b64_e32 v[8:9], v[6:7]
.LBB3_31:                               ;   in Loop: Header=BB3_17 Depth=1
	s_or_b32 exec_lo, exec_lo, s1
	s_wait_dscnt 0x1
	ds_bpermute_b32 v6, v19, v20
	s_wait_dscnt 0x1
	ds_bpermute_b32 v9, v19, v21
	ds_bpermute_b32 v10, v19, v22
	s_wait_dscnt 0x2
	v_cmp_eq_f32_e32 vcc_lo, v7, v6
	s_wait_dscnt 0x1
	v_cmp_lt_i32_e64 s1, v9, v21
	v_cmp_lt_f32_e64 s2, v7, v6
	s_and_b32 s1, vcc_lo, s1
	s_delay_alu instid0(SALU_CYCLE_1) | instskip(SKIP_2) | instid1(VALU_DEP_1)
	s_or_b32 vcc_lo, s2, s1
	s_wait_dscnt 0x0
	v_dual_cndmask_b32 v6, v8, v10 :: v_dual_cndmask_b32 v7, v21, v9
	v_and_b32_e32 v8, 31, v7
	s_delay_alu instid0(VALU_DEP_1)
	v_cmp_eq_u32_e32 vcc_lo, v8, v12
	s_and_saveexec_b32 s1, vcc_lo
	s_cbranch_execz .LBB3_16
; %bb.32:                               ;   in Loop: Header=BB3_17 Depth=1
	v_add_f32_e32 v8, v14, v6
	global_store_b32 v[4:5], v7, off
	v_cndmask_b32_e64 v14, v14, v8, s3
	s_branch .LBB3_16
.LBB3_33:
	s_and_b32 vcc_lo, exec_lo, s3
	s_cbranch_vccnz .LBB3_38
; %bb.34:
	v_cmp_gt_i32_e64 s1, s13, v12
	s_and_not1_b32 vcc_lo, exec_lo, s0
	s_cbranch_vccz .LBB3_39
.LBB3_35:
	v_cmp_gt_i32_e32 vcc_lo, s13, v12
	s_and_b32 exec_lo, exec_lo, vcc_lo
	s_cbranch_execz .LBB3_37
.LBB3_36:
	v_mul_lo_u32 v2, v11, s13
	s_wait_dscnt 0x0
	s_delay_alu instid0(VALU_DEP_1) | instskip(SKIP_1) | instid1(VALU_DEP_1)
	v_dual_mov_b32 v1, 0 :: v_dual_ashrrev_i32 v3, 31, v2
	s_wait_kmcnt 0x0
	v_lshl_add_u64 v[2:3], v[2:3], 2, s[6:7]
	s_delay_alu instid0(VALU_DEP_1)
	v_add_nc_u64_e32 v[0:1], v[2:3], v[0:1]
	v_mul_f32_e32 v2, s15, v13
	global_store_b32 v[0:1], v2, off
.LBB3_37:
	s_endpgm
.LBB3_38:
	v_xor_b32_e32 v3, 8, v1
	v_xor_b32_e32 v2, 16, v1
	;; [unrolled: 1-line block ×3, first 2 shown]
	s_delay_alu instid0(VALU_DEP_2) | instskip(SKIP_4) | instid1(VALU_DEP_2)
	v_cmp_gt_i32_e32 vcc_lo, 32, v2
	v_cndmask_b32_e32 v2, v1, v2, vcc_lo
	v_cmp_gt_i32_e32 vcc_lo, 32, v3
	v_cndmask_b32_e32 v3, v1, v3, vcc_lo
	v_cmp_gt_i32_e32 vcc_lo, 32, v4
	v_dual_lshlrev_b32 v3, 2, v3 :: v_dual_lshlrev_b32 v2, 2, v2
	ds_bpermute_b32 v2, v2, v14
	s_wait_dscnt 0x0
	v_add_f32_e32 v2, v14, v2
	ds_bpermute_b32 v3, v3, v2
	s_wait_dscnt 0x0
	v_dual_cndmask_b32 v4, v1, v4, vcc_lo :: v_dual_add_f32 v2, v2, v3
	s_delay_alu instid0(VALU_DEP_1) | instskip(SKIP_3) | instid1(VALU_DEP_1)
	v_lshlrev_b32_e32 v4, 2, v4
	ds_bpermute_b32 v3, v4, v2
	s_wait_dscnt 0x0
	v_dual_add_f32 v2, v2, v3 :: v_dual_bitop2_b32 v4, 2, v1 bitop3:0x14
	v_cmp_gt_i32_e32 vcc_lo, 32, v4
	v_cndmask_b32_e32 v4, v1, v4, vcc_lo
	s_delay_alu instid0(VALU_DEP_1) | instskip(SKIP_2) | instid1(VALU_DEP_1)
	v_lshlrev_b32_e32 v4, 2, v4
	ds_bpermute_b32 v3, v4, v2
	v_xor_b32_e32 v4, 1, v1
	v_cmp_gt_i32_e32 vcc_lo, 32, v4
	v_cndmask_b32_e32 v4, v1, v4, vcc_lo
	s_wait_dscnt 0x0
	s_delay_alu instid0(VALU_DEP_1) | instskip(SKIP_4) | instid1(VALU_DEP_1)
	v_dual_lshlrev_b32 v4, 2, v4 :: v_dual_add_f32 v2, v2, v3
	ds_bpermute_b32 v3, v4, v2
	v_max_num_f32_e64 v4, s14, s14
	s_wait_dscnt 0x0
	v_add_f32_e32 v2, v2, v3
	v_max_num_f32_e32 v2, v2, v4
	s_delay_alu instid0(VALU_DEP_1) | instskip(NEXT) | instid1(VALU_DEP_1)
	v_div_scale_f32 v3, null, v2, v2, 1.0
	v_rcp_f32_e32 v4, v3
	v_nop
	s_delay_alu instid0(TRANS32_DEP_1) | instskip(NEXT) | instid1(VALU_DEP_1)
	v_fma_f32 v5, -v3, v4, 1.0
	v_fmac_f32_e32 v4, v5, v4
	v_div_scale_f32 v5, vcc_lo, 1.0, v2, 1.0
	s_delay_alu instid0(VALU_DEP_1) | instskip(NEXT) | instid1(VALU_DEP_1)
	v_mul_f32_e32 v6, v5, v4
	v_fma_f32 v7, -v3, v6, v5
	s_delay_alu instid0(VALU_DEP_1) | instskip(NEXT) | instid1(VALU_DEP_1)
	v_fmac_f32_e32 v6, v7, v4
	v_fma_f32 v3, -v3, v6, v5
	s_delay_alu instid0(VALU_DEP_1) | instskip(NEXT) | instid1(VALU_DEP_1)
	v_div_fmas_f32 v3, v3, v4, v6
	v_div_fixup_f32 v2, v3, v2, 1.0
	s_delay_alu instid0(VALU_DEP_1)
	v_mul_f32_e32 v13, v2, v13
	v_cmp_gt_i32_e64 s1, s13, v12
	s_and_not1_b32 vcc_lo, exec_lo, s0
	s_cbranch_vccnz .LBB3_35
.LBB3_39:
	v_xor_b32_e32 v3, 16, v1
	v_xor_b32_e32 v5, 8, v1
	;; [unrolled: 1-line block ×3, first 2 shown]
	s_delay_alu instid0(VALU_DEP_3) | instskip(SKIP_3) | instid1(VALU_DEP_2)
	v_cmp_gt_i32_e32 vcc_lo, 32, v3
	v_cndmask_b32_e32 v3, v1, v3, vcc_lo
	v_max_num_f32_e32 v2, v13, v13
	v_cmp_gt_i32_e32 vcc_lo, 32, v5
	v_dual_max_num_f32 v2, 0xff800000, v2 :: v_dual_lshlrev_b32 v3, 2, v3
	v_cndmask_b32_e32 v5, v1, v5, vcc_lo
	s_delay_alu instid0(VALU_DEP_2) | instskip(SKIP_3) | instid1(VALU_DEP_1)
	v_cndmask_b32_e64 v2, 0xff800000, v2, s1
	ds_bpermute_b32 v4, v3, v2
	s_wait_dscnt 0x0
	v_dual_max_num_f32 v4, v4, v4 :: v_dual_lshlrev_b32 v5, 2, v5
	v_max_num_f32_e32 v2, v2, v4
	ds_bpermute_b32 v4, v5, v2
	s_wait_dscnt 0x0
	v_dual_max_num_f32 v4, v4, v4 :: v_dual_bitop2_b32 v6, 4, v1 bitop3:0x14
	s_delay_alu instid0(VALU_DEP_1) | instskip(NEXT) | instid1(VALU_DEP_2)
	v_cmp_gt_i32_e32 vcc_lo, 32, v6
	v_dual_max_num_f32 v2, v2, v4 :: v_dual_cndmask_b32 v6, v1, v6, vcc_lo
	v_cmp_gt_i32_e32 vcc_lo, 32, v7
	s_delay_alu instid0(VALU_DEP_2) | instskip(SKIP_3) | instid1(VALU_DEP_1)
	v_lshlrev_b32_e32 v6, 2, v6
	ds_bpermute_b32 v4, v6, v2
	s_wait_dscnt 0x0
	v_dual_cndmask_b32 v7, v1, v7 :: v_dual_max_num_f32 v4, v4, v4
	v_dual_max_num_f32 v2, v2, v4 :: v_dual_lshlrev_b32 v7, 2, v7
	ds_bpermute_b32 v4, v7, v2
	s_wait_dscnt 0x0
	v_dual_max_num_f32 v4, v4, v4 :: v_dual_bitop2_b32 v8, 1, v1 bitop3:0x14
	s_delay_alu instid0(VALU_DEP_1) | instskip(SKIP_1) | instid1(VALU_DEP_1)
	v_cmp_gt_i32_e32 vcc_lo, 32, v8
	v_cndmask_b32_e32 v1, v1, v8, vcc_lo
	v_dual_max_num_f32 v1, v2, v4 :: v_dual_lshlrev_b32 v8, 2, v1
	ds_bpermute_b32 v2, v8, v1
	s_wait_dscnt 0x0
	v_max_num_f32_e32 v2, v2, v2
	s_delay_alu instid0(VALU_DEP_1) | instskip(NEXT) | instid1(VALU_DEP_1)
	v_max_num_f32_e32 v1, v1, v2
	v_dual_sub_f32 v1, v13, v1 :: v_dual_mov_b32 v13, 0
	s_delay_alu instid0(VALU_DEP_1) | instskip(NEXT) | instid1(VALU_DEP_1)
	v_mul_f32_e32 v2, 0x3fb8aa3b, v1
	v_fma_f32 v4, 0x3fb8aa3b, v1, -v2
	v_rndne_f32_e32 v9, v2
	s_delay_alu instid0(VALU_DEP_2) | instskip(NEXT) | instid1(VALU_DEP_2)
	v_fmamk_f32 v4, v1, 0x32a5705f, v4
	v_sub_f32_e32 v2, v2, v9
	s_delay_alu instid0(VALU_DEP_1) | instskip(SKIP_2) | instid1(VALU_DEP_3)
	v_add_f32_e32 v2, v2, v4
	v_cvt_i32_f32_e32 v4, v9
	v_cmp_ngt_f32_e32 vcc_lo, 0xc2ce8ed0, v1
	v_exp_f32_e32 v2, v2
	v_nop
	s_delay_alu instid0(TRANS32_DEP_1) | instskip(NEXT) | instid1(VALU_DEP_1)
	v_ldexp_f32 v2, v2, v4
	v_cndmask_b32_e32 v2, 0, v2, vcc_lo
	v_cmp_nlt_f32_e32 vcc_lo, 0x42b17218, v1
	s_delay_alu instid0(VALU_DEP_2) | instskip(NEXT) | instid1(VALU_DEP_1)
	v_cndmask_b32_e32 v1, 0x7f800000, v2, vcc_lo
	v_cndmask_b32_e64 v2, 0, v1, s1
	ds_bpermute_b32 v3, v3, v2
	s_wait_dscnt 0x0
	v_add_f32_e32 v2, v2, v3
	ds_bpermute_b32 v3, v5, v2
	s_wait_dscnt 0x0
	v_add_f32_e32 v2, v2, v3
	;; [unrolled: 3-line block ×4, first 2 shown]
	ds_bpermute_b32 v3, v8, v2
	s_and_saveexec_b32 s0, s1
	s_cbranch_execz .LBB3_41
; %bb.40:
	s_wait_dscnt 0x0
	v_add_f32_e32 v2, v2, v3
	s_delay_alu instid0(VALU_DEP_1) | instskip(NEXT) | instid1(VALU_DEP_1)
	v_div_scale_f32 v3, null, v2, v2, 1.0
	v_rcp_f32_e32 v4, v3
	v_nop
	s_delay_alu instid0(TRANS32_DEP_1) | instskip(NEXT) | instid1(VALU_DEP_1)
	v_fma_f32 v5, -v3, v4, 1.0
	v_fmac_f32_e32 v4, v5, v4
	v_div_scale_f32 v5, vcc_lo, 1.0, v2, 1.0
	s_delay_alu instid0(VALU_DEP_1) | instskip(NEXT) | instid1(VALU_DEP_1)
	v_mul_f32_e32 v6, v5, v4
	v_fma_f32 v7, -v3, v6, v5
	s_delay_alu instid0(VALU_DEP_1) | instskip(NEXT) | instid1(VALU_DEP_1)
	v_fmac_f32_e32 v6, v7, v4
	v_fma_f32 v3, -v3, v6, v5
	s_delay_alu instid0(VALU_DEP_1) | instskip(NEXT) | instid1(VALU_DEP_1)
	v_div_fmas_f32 v3, v3, v4, v6
	v_div_fixup_f32 v2, v3, v2, 1.0
	s_delay_alu instid0(VALU_DEP_1)
	v_mul_f32_e32 v13, v1, v2
.LBB3_41:
	s_or_b32 exec_lo, exec_lo, s0
	v_cmp_gt_i32_e32 vcc_lo, s13, v12
	s_and_b32 exec_lo, exec_lo, vcc_lo
	s_cbranch_execnz .LBB3_36
	s_branch .LBB3_37
	.section	.rodata,"a",@progbits
	.p2align	6, 0x0
	.amdhsa_kernel _Z13topk_moe_cudaILi8ELb1EEvPKfPfPiS2_iiff15topk_moe_config
		.amdhsa_group_segment_fixed_size 0
		.amdhsa_private_segment_fixed_size 0
		.amdhsa_kernarg_size 312
		.amdhsa_user_sgpr_count 2
		.amdhsa_user_sgpr_dispatch_ptr 0
		.amdhsa_user_sgpr_queue_ptr 0
		.amdhsa_user_sgpr_kernarg_segment_ptr 1
		.amdhsa_user_sgpr_dispatch_id 0
		.amdhsa_user_sgpr_kernarg_preload_length 0
		.amdhsa_user_sgpr_kernarg_preload_offset 0
		.amdhsa_user_sgpr_private_segment_size 0
		.amdhsa_wavefront_size32 1
		.amdhsa_uses_dynamic_stack 0
		.amdhsa_enable_private_segment 0
		.amdhsa_system_sgpr_workgroup_id_x 1
		.amdhsa_system_sgpr_workgroup_id_y 0
		.amdhsa_system_sgpr_workgroup_id_z 0
		.amdhsa_system_sgpr_workgroup_info 0
		.amdhsa_system_vgpr_workitem_id 1
		.amdhsa_next_free_vgpr 25
		.amdhsa_next_free_sgpr 16
		.amdhsa_named_barrier_count 0
		.amdhsa_reserve_vcc 1
		.amdhsa_float_round_mode_32 0
		.amdhsa_float_round_mode_16_64 0
		.amdhsa_float_denorm_mode_32 3
		.amdhsa_float_denorm_mode_16_64 3
		.amdhsa_fp16_overflow 0
		.amdhsa_memory_ordered 1
		.amdhsa_forward_progress 1
		.amdhsa_inst_pref_size 24
		.amdhsa_round_robin_scheduling 0
		.amdhsa_exception_fp_ieee_invalid_op 0
		.amdhsa_exception_fp_denorm_src 0
		.amdhsa_exception_fp_ieee_div_zero 0
		.amdhsa_exception_fp_ieee_overflow 0
		.amdhsa_exception_fp_ieee_underflow 0
		.amdhsa_exception_fp_ieee_inexact 0
		.amdhsa_exception_int_div_zero 0
	.end_amdhsa_kernel
	.section	.text._Z13topk_moe_cudaILi8ELb1EEvPKfPfPiS2_iiff15topk_moe_config,"axG",@progbits,_Z13topk_moe_cudaILi8ELb1EEvPKfPfPiS2_iiff15topk_moe_config,comdat
.Lfunc_end3:
	.size	_Z13topk_moe_cudaILi8ELb1EEvPKfPfPiS2_iiff15topk_moe_config, .Lfunc_end3-_Z13topk_moe_cudaILi8ELb1EEvPKfPfPiS2_iiff15topk_moe_config
                                        ; -- End function
	.set _Z13topk_moe_cudaILi8ELb1EEvPKfPfPiS2_iiff15topk_moe_config.num_vgpr, 25
	.set _Z13topk_moe_cudaILi8ELb1EEvPKfPfPiS2_iiff15topk_moe_config.num_agpr, 0
	.set _Z13topk_moe_cudaILi8ELb1EEvPKfPfPiS2_iiff15topk_moe_config.numbered_sgpr, 16
	.set _Z13topk_moe_cudaILi8ELb1EEvPKfPfPiS2_iiff15topk_moe_config.num_named_barrier, 0
	.set _Z13topk_moe_cudaILi8ELb1EEvPKfPfPiS2_iiff15topk_moe_config.private_seg_size, 0
	.set _Z13topk_moe_cudaILi8ELb1EEvPKfPfPiS2_iiff15topk_moe_config.uses_vcc, 1
	.set _Z13topk_moe_cudaILi8ELb1EEvPKfPfPiS2_iiff15topk_moe_config.uses_flat_scratch, 0
	.set _Z13topk_moe_cudaILi8ELb1EEvPKfPfPiS2_iiff15topk_moe_config.has_dyn_sized_stack, 0
	.set _Z13topk_moe_cudaILi8ELb1EEvPKfPfPiS2_iiff15topk_moe_config.has_recursion, 0
	.set _Z13topk_moe_cudaILi8ELb1EEvPKfPfPiS2_iiff15topk_moe_config.has_indirect_call, 0
	.section	.AMDGPU.csdata,"",@progbits
; Kernel info:
; codeLenInByte = 3028
; TotalNumSgprs: 18
; NumVgprs: 25
; ScratchSize: 0
; MemoryBound: 0
; FloatMode: 240
; IeeeMode: 1
; LDSByteSize: 0 bytes/workgroup (compile time only)
; SGPRBlocks: 0
; VGPRBlocks: 1
; NumSGPRsForWavesPerEU: 18
; NumVGPRsForWavesPerEU: 25
; NamedBarCnt: 0
; Occupancy: 16
; WaveLimiterHint : 0
; COMPUTE_PGM_RSRC2:SCRATCH_EN: 0
; COMPUTE_PGM_RSRC2:USER_SGPR: 2
; COMPUTE_PGM_RSRC2:TRAP_HANDLER: 0
; COMPUTE_PGM_RSRC2:TGID_X_EN: 1
; COMPUTE_PGM_RSRC2:TGID_Y_EN: 0
; COMPUTE_PGM_RSRC2:TGID_Z_EN: 0
; COMPUTE_PGM_RSRC2:TIDIG_COMP_CNT: 1
	.section	.text._Z13topk_moe_cudaILi16ELb1EEvPKfPfPiS2_iiff15topk_moe_config,"axG",@progbits,_Z13topk_moe_cudaILi16ELb1EEvPKfPfPiS2_iiff15topk_moe_config,comdat
	.protected	_Z13topk_moe_cudaILi16ELb1EEvPKfPfPiS2_iiff15topk_moe_config ; -- Begin function _Z13topk_moe_cudaILi16ELb1EEvPKfPfPiS2_iiff15topk_moe_config
	.globl	_Z13topk_moe_cudaILi16ELb1EEvPKfPfPiS2_iiff15topk_moe_config
	.p2align	8
	.type	_Z13topk_moe_cudaILi16ELb1EEvPKfPfPiS2_iiff15topk_moe_config,@function
_Z13topk_moe_cudaILi16ELb1EEvPKfPfPiS2_iiff15topk_moe_config: ; @_Z13topk_moe_cudaILi16ELb1EEvPKfPfPiS2_iiff15topk_moe_config
; %bb.0:
	s_clause 0x1
	s_load_u16 s2, s[0:1], 0x46
	s_load_b128 s[12:15], s[0:1], 0x20
	s_bfe_u32 s3, ttmp6, 0x4000c
	s_and_b32 s4, ttmp6, 15
	s_add_co_i32 s3, s3, 1
	v_bfe_u32 v1, v0, 10, 10
	s_mul_i32 s3, ttmp9, s3
	s_delay_alu instid0(SALU_CYCLE_1) | instskip(SKIP_1) | instid1(SALU_CYCLE_1)
	s_add_co_i32 s4, s4, s3
	s_getreg_b32 s3, hwreg(HW_REG_IB_STS2, 6, 4)
	s_cmp_eq_u32 s3, 0
	s_cselect_b32 s3, ttmp9, s4
	s_wait_kmcnt 0x0
	v_mad_u32 v11, s3, s2, v1
	s_mov_b32 s2, exec_lo
	s_delay_alu instid0(VALU_DEP_1)
	v_cmpx_gt_i32_e64 s12, v11
	s_cbranch_execz .LBB4_37
; %bb.1:
	v_dual_mov_b32 v1, 0 :: v_dual_lshlrev_b32 v4, 4, v11
	s_load_b256 s[4:11], s[0:1], 0x0
	v_and_b32_e32 v12, 0x3ff, v0
	v_mov_b32_e32 v2, 0xff800000
	s_clause 0x1
	global_load_u16 v3, v1, s[0:1] offset:48
	global_load_i8 v6, v1, s[0:1] offset:50
	v_ashrrev_i32_e32 v5, 31, v4
	s_wait_xcnt 0x0
	v_cmp_gt_u32_e64 s1, 16, v12
	v_lshlrev_b32_e32 v0, 2, v12
	s_wait_loadcnt 0x1
	v_readfirstlane_b32 s2, v3
	s_and_saveexec_b32 s0, s1
	s_cbranch_execz .LBB4_3
; %bb.2:
	s_wait_kmcnt 0x0
	v_lshl_add_u64 v[8:9], v[4:5], 2, s[4:5]
	s_delay_alu instid0(VALU_DEP_1)
	v_add_nc_u64_e32 v[8:9], v[8:9], v[0:1]
	global_load_b32 v2, v[8:9], off
.LBB4_3:
	s_wait_xcnt 0x0
	s_or_b32 exec_lo, exec_lo, s0
	s_wait_loadcnt 0x0
	v_and_b32_e32 v1, 1, v6
	s_delay_alu instid0(VALU_DEP_1)
	v_cmp_eq_u32_e64 s0, 1, v1
	s_and_b32 vcc_lo, exec_lo, s0
	s_cbranch_vccnz .LBB4_9
; %bb.4:
	v_and_b32_e32 v1, 1, v3
	s_mov_b32 s3, 0
	s_delay_alu instid0(VALU_DEP_1)
	v_cmp_eq_u32_e32 vcc_lo, 0, v1
	s_cbranch_vccz .LBB4_6
; %bb.5:
	v_mbcnt_lo_u32_b32 v1, -1, 0
	s_delay_alu instid0(VALU_DEP_1) | instskip(SKIP_1) | instid1(VALU_DEP_2)
	v_dual_max_num_f32 v6, v2, v2 :: v_dual_bitop2_b32 v3, 16, v1 bitop3:0x14
	v_xor_b32_e32 v10, 2, v1
	v_max_num_f32_e32 v6, 0xff800000, v6
	v_xor_b32_e32 v8, 8, v1
	s_delay_alu instid0(VALU_DEP_4) | instskip(SKIP_1) | instid1(VALU_DEP_3)
	v_cmp_gt_i32_e32 vcc_lo, 32, v3
	v_cndmask_b32_e32 v3, v1, v3, vcc_lo
	v_cmp_gt_i32_e32 vcc_lo, 32, v8
	s_delay_alu instid0(VALU_DEP_2) | instskip(SKIP_3) | instid1(VALU_DEP_1)
	v_lshlrev_b32_e32 v3, 2, v3
	ds_bpermute_b32 v7, v3, v6
	s_wait_dscnt 0x0
	v_dual_cndmask_b32 v8, v1, v8 :: v_dual_max_num_f32 v7, v7, v7
	v_dual_lshlrev_b32 v8, 2, v8 :: v_dual_max_num_f32 v6, v6, v7
	ds_bpermute_b32 v7, v8, v6
	s_wait_dscnt 0x0
	v_dual_max_num_f32 v7, v7, v7 :: v_dual_bitop2_b32 v9, 4, v1 bitop3:0x14
	s_delay_alu instid0(VALU_DEP_1) | instskip(NEXT) | instid1(VALU_DEP_2)
	v_cmp_gt_i32_e32 vcc_lo, 32, v9
	v_dual_max_num_f32 v6, v6, v7 :: v_dual_cndmask_b32 v9, v1, v9
	v_cmp_gt_i32_e32 vcc_lo, 32, v10
	s_delay_alu instid0(VALU_DEP_2) | instskip(SKIP_3) | instid1(VALU_DEP_1)
	v_dual_cndmask_b32 v10, v1, v10 :: v_dual_lshlrev_b32 v9, 2, v9
	ds_bpermute_b32 v7, v9, v6
	s_wait_dscnt 0x0
	v_dual_max_num_f32 v7, v7, v7 :: v_dual_lshlrev_b32 v10, 2, v10
	v_max_num_f32_e32 v6, v6, v7
	ds_bpermute_b32 v7, v10, v6
	s_wait_dscnt 0x0
	v_dual_max_num_f32 v7, v7, v7 :: v_dual_bitop2_b32 v13, 1, v1 bitop3:0x14
	s_delay_alu instid0(VALU_DEP_1) | instskip(NEXT) | instid1(VALU_DEP_2)
	v_cmp_gt_i32_e32 vcc_lo, 32, v13
	v_dual_max_num_f32 v6, v6, v7 :: v_dual_cndmask_b32 v1, v1, v13
	s_delay_alu instid0(VALU_DEP_1) | instskip(SKIP_3) | instid1(VALU_DEP_1)
	v_lshlrev_b32_e32 v1, 2, v1
	ds_bpermute_b32 v7, v1, v6
	s_wait_dscnt 0x0
	v_max_num_f32_e32 v7, v7, v7
	v_max_num_f32_e32 v6, v6, v7
	s_delay_alu instid0(VALU_DEP_1) | instskip(NEXT) | instid1(VALU_DEP_1)
	v_sub_f32_e32 v6, v2, v6
	v_mul_f32_e32 v7, 0x3fb8aa3b, v6
	s_delay_alu instid0(VALU_DEP_1) | instskip(SKIP_1) | instid1(VALU_DEP_2)
	v_fma_f32 v13, 0x3fb8aa3b, v6, -v7
	v_rndne_f32_e32 v14, v7
	v_fmamk_f32 v13, v6, 0x32a5705f, v13
	s_delay_alu instid0(VALU_DEP_2) | instskip(NEXT) | instid1(VALU_DEP_1)
	v_sub_f32_e32 v7, v7, v14
	v_add_f32_e32 v7, v7, v13
	v_cvt_i32_f32_e32 v13, v14
	v_cmp_ngt_f32_e32 vcc_lo, 0xc2ce8ed0, v6
	s_delay_alu instid0(VALU_DEP_3) | instskip(SKIP_1) | instid1(TRANS32_DEP_1)
	v_exp_f32_e32 v7, v7
	v_nop
	v_ldexp_f32 v7, v7, v13
	s_delay_alu instid0(VALU_DEP_1) | instskip(SKIP_1) | instid1(VALU_DEP_2)
	v_cndmask_b32_e32 v7, 0, v7, vcc_lo
	v_cmp_nlt_f32_e32 vcc_lo, 0x42b17218, v6
	v_cndmask_b32_e32 v6, 0x7f800000, v7, vcc_lo
	ds_bpermute_b32 v3, v3, v6
	s_wait_dscnt 0x0
	v_add_f32_e32 v3, v6, v3
	ds_bpermute_b32 v7, v8, v3
	s_wait_dscnt 0x0
	v_add_f32_e32 v3, v3, v7
	;; [unrolled: 3-line block ×5, first 2 shown]
	s_delay_alu instid0(VALU_DEP_1) | instskip(NEXT) | instid1(VALU_DEP_1)
	v_div_scale_f32 v3, null, v1, v1, 1.0
	v_rcp_f32_e32 v7, v3
	v_nop
	s_delay_alu instid0(TRANS32_DEP_1) | instskip(NEXT) | instid1(VALU_DEP_1)
	v_fma_f32 v8, -v3, v7, 1.0
	v_fmac_f32_e32 v7, v8, v7
	v_div_scale_f32 v8, vcc_lo, 1.0, v1, 1.0
	s_delay_alu instid0(VALU_DEP_1) | instskip(NEXT) | instid1(VALU_DEP_1)
	v_mul_f32_e32 v9, v8, v7
	v_fma_f32 v10, -v3, v9, v8
	s_delay_alu instid0(VALU_DEP_1) | instskip(NEXT) | instid1(VALU_DEP_1)
	v_fmac_f32_e32 v9, v10, v7
	v_fma_f32 v3, -v3, v9, v8
	s_delay_alu instid0(VALU_DEP_1) | instskip(NEXT) | instid1(VALU_DEP_1)
	v_div_fmas_f32 v3, v3, v7, v9
	v_div_fixup_f32 v1, v3, v1, 1.0
	s_delay_alu instid0(VALU_DEP_1)
	v_mul_f32_e32 v1, v6, v1
	s_and_not1_b32 vcc_lo, exec_lo, s3
	s_cbranch_vccz .LBB4_7
	s_branch .LBB4_8
.LBB4_6:
                                        ; implicit-def: $vgpr1
.LBB4_7:
	v_mul_f32_e32 v1, 0xbfb8aa3b, v2
	v_cmp_nlt_f32_e32 vcc_lo, 0x42ce8ed0, v2
	s_delay_alu instid0(VALU_DEP_2) | instskip(SKIP_1) | instid1(VALU_DEP_1)
	v_rndne_f32_e32 v3, v1
	v_fma_f32 v6, 0xbfb8aa3b, v2, -v1
	v_dual_sub_f32 v1, v1, v3 :: v_dual_fmamk_f32 v6, v2, 0xb2a5705f, v6
	v_cvt_i32_f32_e32 v3, v3
	s_delay_alu instid0(VALU_DEP_2) | instskip(NEXT) | instid1(VALU_DEP_1)
	v_add_f32_e32 v1, v1, v6
	v_exp_f32_e32 v1, v1
	v_nop
	s_delay_alu instid0(TRANS32_DEP_1) | instskip(NEXT) | instid1(VALU_DEP_1)
	v_ldexp_f32 v1, v1, v3
	v_cndmask_b32_e32 v1, 0, v1, vcc_lo
	v_cmp_ngt_f32_e32 vcc_lo, 0xc2b17218, v2
	s_delay_alu instid0(VALU_DEP_2) | instskip(NEXT) | instid1(VALU_DEP_1)
	v_cndmask_b32_e32 v1, 0x7f800000, v1, vcc_lo
	v_add_f32_e32 v1, 1.0, v1
	s_delay_alu instid0(VALU_DEP_1) | instskip(NEXT) | instid1(VALU_DEP_1)
	v_div_scale_f32 v2, null, v1, v1, 1.0
	v_rcp_f32_e32 v3, v2
	v_nop
	s_delay_alu instid0(TRANS32_DEP_1) | instskip(NEXT) | instid1(VALU_DEP_1)
	v_fma_f32 v6, -v2, v3, 1.0
	v_fmac_f32_e32 v3, v6, v3
	v_div_scale_f32 v6, vcc_lo, 1.0, v1, 1.0
	s_delay_alu instid0(VALU_DEP_1) | instskip(NEXT) | instid1(VALU_DEP_1)
	v_mul_f32_e32 v7, v6, v3
	v_fma_f32 v8, -v2, v7, v6
	s_delay_alu instid0(VALU_DEP_1) | instskip(NEXT) | instid1(VALU_DEP_1)
	v_fmac_f32_e32 v7, v8, v3
	v_fma_f32 v2, -v2, v7, v6
	s_delay_alu instid0(VALU_DEP_1) | instskip(NEXT) | instid1(VALU_DEP_1)
	v_div_fmas_f32 v2, v2, v3, v7
	v_div_fixup_f32 v1, v2, v1, 1.0
.LBB4_8:
	s_delay_alu instid0(VALU_DEP_1)
	v_mov_b32_e32 v2, v1
.LBB4_9:
	s_delay_alu instid0(VALU_DEP_1)
	v_cmp_o_f32_e32 vcc_lo, v2, v2
	v_mov_b32_e32 v3, 0xff800000
	v_cndmask_b32_e32 v2, 0xff7fffff, v2, vcc_lo
	s_and_saveexec_b32 s3, s1
	s_cbranch_execz .LBB4_11
; %bb.10:
	s_wait_kmcnt 0x0
	global_load_b32 v1, v12, s[10:11] scale_offset
	s_wait_loadcnt 0x0
	v_add_f32_e32 v3, v2, v1
.LBB4_11:
	s_or_b32 exec_lo, exec_lo, s3
	s_lshr_b32 s1, s2, 8
	s_cmp_gt_i32 s13, 0
	s_mov_b32 s2, 0
	s_cbranch_scc1 .LBB4_13
; %bb.12:
	s_bitcmp1_b32 s1, 0
	s_cselect_b32 s3, -1, 0
	s_branch .LBB4_14
.LBB4_13:
	s_mov_b32 s2, -1
                                        ; implicit-def: $sgpr3
.LBB4_14:
	v_dual_mov_b32 v14, 0 :: v_dual_mov_b32 v13, 0
	v_mbcnt_lo_u32_b32 v1, -1, 0
	s_and_not1_b32 vcc_lo, exec_lo, s2
	s_cbranch_vccnz .LBB4_33
; %bb.15:
	s_delay_alu instid0(VALU_DEP_1)
	v_xor_b32_e32 v7, 8, v1
	v_xor_b32_e32 v6, 16, v1
	s_wait_kmcnt 0x0
	v_lshl_add_u64 v[4:5], v[4:5], 2, s[8:9]
	v_mov_b32_e32 v13, 0
	s_bitcmp1_b32 s1, 0
	s_mov_b32 s4, 0
	v_cmp_gt_i32_e32 vcc_lo, 32, v6
	s_cselect_b32 s3, -1, 0
	v_dual_mov_b32 v14, 0 :: v_dual_cndmask_b32 v6, v1, v6, vcc_lo
	v_cmp_gt_i32_e32 vcc_lo, 32, v7
	s_delay_alu instid0(VALU_DEP_2) | instskip(SKIP_1) | instid1(VALU_DEP_1)
	v_dual_lshlrev_b32 v15, 2, v6 :: v_dual_bitop2_b32 v10, 1, v1 bitop3:0x14
	v_dual_cndmask_b32 v7, v1, v7, vcc_lo :: v_dual_bitop2_b32 v8, 4, v1 bitop3:0x14
	v_cmp_gt_i32_e32 vcc_lo, 32, v8
	s_delay_alu instid0(VALU_DEP_2) | instskip(SKIP_1) | instid1(VALU_DEP_2)
	v_dual_lshlrev_b32 v16, 2, v7 :: v_dual_bitop2_b32 v9, 2, v1 bitop3:0x14
	v_cndmask_b32_e32 v8, v1, v8, vcc_lo
	v_cmp_gt_i32_e32 vcc_lo, 32, v9
	v_cndmask_b32_e32 v9, v1, v9, vcc_lo
	v_cmp_gt_i32_e32 vcc_lo, 32, v10
	s_delay_alu instid0(VALU_DEP_2) | instskip(SKIP_1) | instid1(VALU_DEP_1)
	v_dual_lshlrev_b32 v17, 2, v8 :: v_dual_lshlrev_b32 v18, 2, v9
	v_cndmask_b32_e32 v10, v1, v10, vcc_lo
	v_lshlrev_b32_e32 v19, 2, v10
	s_branch .LBB4_17
.LBB4_16:                               ;   in Loop: Header=BB4_17 Depth=1
	s_wait_xcnt 0x0
	s_or_b32 exec_lo, exec_lo, s1
	s_and_b32 s1, s4, 31
	v_cndmask_b32_e64 v3, v3, 0xff800000, vcc_lo
	v_cmp_eq_u32_e32 vcc_lo, s1, v12
	v_add_nc_u64_e32 v[4:5], 4, v[4:5]
	s_add_co_i32 s4, s4, 1
	s_delay_alu instid0(SALU_CYCLE_1)
	s_cmp_eq_u32 s13, s4
	v_cndmask_b32_e32 v13, v13, v6, vcc_lo
	s_cbranch_scc1 .LBB4_33
.LBB4_17:                               ; =>This Inner Loop Header: Depth=1
	ds_bpermute_b32 v9, v15, v3
	ds_bpermute_b32 v10, v15, v12
	ds_bpermute_b32 v8, v15, v2
	v_mov_b64_e32 v[6:7], v[2:3]
	v_dual_mov_b32 v20, v3 :: v_dual_mov_b32 v22, v2
	v_mov_b32_e32 v21, v12
	s_wait_dscnt 0x2
	v_cmp_eq_f32_e64 s1, v3, v9
	s_wait_dscnt 0x1
	v_cmp_lt_i32_e64 s2, v10, v12
	v_cmp_lt_f32_e32 vcc_lo, v3, v9
	s_and_b32 s1, s1, s2
	s_delay_alu instid0(SALU_CYCLE_1) | instskip(NEXT) | instid1(SALU_CYCLE_1)
	s_or_b32 s2, vcc_lo, s1
	s_and_saveexec_b32 s1, s2
	s_cbranch_execz .LBB4_19
; %bb.18:                               ;   in Loop: Header=BB4_17 Depth=1
	s_wait_dscnt 0x0
	v_mov_b64_e32 v[6:7], v[8:9]
	v_dual_mov_b32 v20, v9 :: v_dual_mov_b32 v22, v8
	v_mov_b32_e32 v21, v10
.LBB4_19:                               ;   in Loop: Header=BB4_17 Depth=1
	s_or_b32 exec_lo, exec_lo, s1
	ds_bpermute_b32 v24, v16, v20
	ds_bpermute_b32 v10, v16, v22
	;; [unrolled: 1-line block ×3, first 2 shown]
	s_mov_b32 s5, exec_lo
	s_wait_dscnt 0x2
	v_cmp_lt_f32_e64 s2, v7, v24
	v_cmpx_nlt_f32_e32 v7, v24
	s_cbranch_execz .LBB4_21
; %bb.20:                               ;   in Loop: Header=BB4_17 Depth=1
	v_cmp_eq_f32_e32 vcc_lo, v7, v24
	s_wait_dscnt 0x0
	v_cmp_lt_i32_e64 s1, v23, v21
	s_and_not1_b32 s2, s2, exec_lo
	s_and_b32 s1, vcc_lo, s1
	s_delay_alu instid0(SALU_CYCLE_1) | instskip(NEXT) | instid1(SALU_CYCLE_1)
	s_and_b32 s1, s1, exec_lo
	s_or_b32 s2, s2, s1
.LBB4_21:                               ;   in Loop: Header=BB4_17 Depth=1
	s_or_b32 exec_lo, exec_lo, s5
	v_mov_b64_e32 v[8:9], v[6:7]
	s_and_saveexec_b32 s1, s2
	s_cbranch_execz .LBB4_23
; %bb.22:                               ;   in Loop: Header=BB4_17 Depth=1
	s_wait_dscnt 0x1
	v_mov_b64_e32 v[8:9], v[10:11]
	v_dual_mov_b32 v7, v24 :: v_dual_mov_b32 v20, v24
	s_wait_dscnt 0x0
	v_dual_mov_b32 v22, v10 :: v_dual_mov_b32 v21, v23
.LBB4_23:                               ;   in Loop: Header=BB4_17 Depth=1
	s_or_b32 exec_lo, exec_lo, s1
	s_wait_dscnt 0x1
	ds_bpermute_b32 v10, v17, v20
	ds_bpermute_b32 v6, v17, v22
	ds_bpermute_b32 v9, v17, v21
	s_mov_b32 s5, exec_lo
	s_wait_dscnt 0x2
	v_cmp_lt_f32_e64 s2, v7, v10
	v_cmpx_nlt_f32_e32 v7, v10
	s_cbranch_execz .LBB4_25
; %bb.24:                               ;   in Loop: Header=BB4_17 Depth=1
	v_cmp_eq_f32_e32 vcc_lo, v7, v10
	s_wait_dscnt 0x0
	v_cmp_lt_i32_e64 s1, v9, v21
	s_and_not1_b32 s2, s2, exec_lo
	s_and_b32 s1, vcc_lo, s1
	s_delay_alu instid0(SALU_CYCLE_1) | instskip(NEXT) | instid1(SALU_CYCLE_1)
	s_and_b32 s1, s1, exec_lo
	s_or_b32 s2, s2, s1
.LBB4_25:                               ;   in Loop: Header=BB4_17 Depth=1
	s_or_b32 exec_lo, exec_lo, s5
	s_and_saveexec_b32 s1, s2
	s_cbranch_execz .LBB4_27
; %bb.26:                               ;   in Loop: Header=BB4_17 Depth=1
	v_dual_mov_b32 v7, v10 :: v_dual_mov_b32 v20, v10
	s_wait_dscnt 0x0
	v_dual_mov_b32 v22, v6 :: v_dual_mov_b32 v21, v9
	s_delay_alu instid0(VALU_DEP_2)
	v_mov_b64_e32 v[8:9], v[6:7]
.LBB4_27:                               ;   in Loop: Header=BB4_17 Depth=1
	s_or_b32 exec_lo, exec_lo, s1
	ds_bpermute_b32 v10, v18, v20
	s_wait_dscnt 0x2
	ds_bpermute_b32 v6, v18, v22
	s_wait_dscnt 0x2
	ds_bpermute_b32 v9, v18, v21
	s_mov_b32 s5, exec_lo
	s_wait_dscnt 0x2
	v_cmp_lt_f32_e64 s2, v7, v10
	v_cmpx_nlt_f32_e32 v7, v10
	s_cbranch_execz .LBB4_29
; %bb.28:                               ;   in Loop: Header=BB4_17 Depth=1
	v_cmp_eq_f32_e32 vcc_lo, v7, v10
	s_wait_dscnt 0x0
	v_cmp_lt_i32_e64 s1, v9, v21
	s_and_not1_b32 s2, s2, exec_lo
	s_and_b32 s1, vcc_lo, s1
	s_delay_alu instid0(SALU_CYCLE_1) | instskip(NEXT) | instid1(SALU_CYCLE_1)
	s_and_b32 s1, s1, exec_lo
	s_or_b32 s2, s2, s1
.LBB4_29:                               ;   in Loop: Header=BB4_17 Depth=1
	s_or_b32 exec_lo, exec_lo, s5
	s_and_saveexec_b32 s1, s2
	s_cbranch_execz .LBB4_31
; %bb.30:                               ;   in Loop: Header=BB4_17 Depth=1
	v_dual_mov_b32 v7, v10 :: v_dual_mov_b32 v20, v10
	s_wait_dscnt 0x0
	v_dual_mov_b32 v22, v6 :: v_dual_mov_b32 v21, v9
	s_delay_alu instid0(VALU_DEP_2)
	v_mov_b64_e32 v[8:9], v[6:7]
.LBB4_31:                               ;   in Loop: Header=BB4_17 Depth=1
	s_or_b32 exec_lo, exec_lo, s1
	s_wait_dscnt 0x1
	ds_bpermute_b32 v6, v19, v20
	s_wait_dscnt 0x1
	ds_bpermute_b32 v9, v19, v21
	ds_bpermute_b32 v10, v19, v22
	s_wait_dscnt 0x2
	v_cmp_eq_f32_e32 vcc_lo, v7, v6
	s_wait_dscnt 0x1
	v_cmp_lt_i32_e64 s1, v9, v21
	v_cmp_lt_f32_e64 s2, v7, v6
	s_and_b32 s1, vcc_lo, s1
	s_delay_alu instid0(SALU_CYCLE_1) | instskip(SKIP_2) | instid1(VALU_DEP_1)
	s_or_b32 vcc_lo, s2, s1
	s_wait_dscnt 0x0
	v_dual_cndmask_b32 v6, v8, v10 :: v_dual_cndmask_b32 v7, v21, v9
	v_and_b32_e32 v8, 31, v7
	s_delay_alu instid0(VALU_DEP_1)
	v_cmp_eq_u32_e32 vcc_lo, v8, v12
	s_and_saveexec_b32 s1, vcc_lo
	s_cbranch_execz .LBB4_16
; %bb.32:                               ;   in Loop: Header=BB4_17 Depth=1
	v_add_f32_e32 v8, v14, v6
	global_store_b32 v[4:5], v7, off
	v_cndmask_b32_e64 v14, v14, v8, s3
	s_branch .LBB4_16
.LBB4_33:
	s_and_b32 vcc_lo, exec_lo, s3
	s_cbranch_vccnz .LBB4_38
; %bb.34:
	v_cmp_gt_i32_e64 s1, s13, v12
	s_and_not1_b32 vcc_lo, exec_lo, s0
	s_cbranch_vccz .LBB4_39
.LBB4_35:
	v_cmp_gt_i32_e32 vcc_lo, s13, v12
	s_and_b32 exec_lo, exec_lo, vcc_lo
	s_cbranch_execz .LBB4_37
.LBB4_36:
	v_mul_lo_u32 v2, v11, s13
	s_wait_dscnt 0x0
	s_delay_alu instid0(VALU_DEP_1) | instskip(SKIP_1) | instid1(VALU_DEP_1)
	v_dual_mov_b32 v1, 0 :: v_dual_ashrrev_i32 v3, 31, v2
	s_wait_kmcnt 0x0
	v_lshl_add_u64 v[2:3], v[2:3], 2, s[6:7]
	s_delay_alu instid0(VALU_DEP_1)
	v_add_nc_u64_e32 v[0:1], v[2:3], v[0:1]
	v_mul_f32_e32 v2, s15, v13
	global_store_b32 v[0:1], v2, off
.LBB4_37:
	s_endpgm
.LBB4_38:
	v_xor_b32_e32 v3, 8, v1
	v_xor_b32_e32 v2, 16, v1
	;; [unrolled: 1-line block ×3, first 2 shown]
	s_delay_alu instid0(VALU_DEP_2) | instskip(SKIP_4) | instid1(VALU_DEP_2)
	v_cmp_gt_i32_e32 vcc_lo, 32, v2
	v_cndmask_b32_e32 v2, v1, v2, vcc_lo
	v_cmp_gt_i32_e32 vcc_lo, 32, v3
	v_cndmask_b32_e32 v3, v1, v3, vcc_lo
	v_cmp_gt_i32_e32 vcc_lo, 32, v4
	v_dual_lshlrev_b32 v3, 2, v3 :: v_dual_lshlrev_b32 v2, 2, v2
	ds_bpermute_b32 v2, v2, v14
	s_wait_dscnt 0x0
	v_add_f32_e32 v2, v14, v2
	ds_bpermute_b32 v3, v3, v2
	s_wait_dscnt 0x0
	v_dual_cndmask_b32 v4, v1, v4, vcc_lo :: v_dual_add_f32 v2, v2, v3
	s_delay_alu instid0(VALU_DEP_1) | instskip(SKIP_3) | instid1(VALU_DEP_1)
	v_lshlrev_b32_e32 v4, 2, v4
	ds_bpermute_b32 v3, v4, v2
	s_wait_dscnt 0x0
	v_dual_add_f32 v2, v2, v3 :: v_dual_bitop2_b32 v4, 2, v1 bitop3:0x14
	v_cmp_gt_i32_e32 vcc_lo, 32, v4
	v_cndmask_b32_e32 v4, v1, v4, vcc_lo
	s_delay_alu instid0(VALU_DEP_1) | instskip(SKIP_2) | instid1(VALU_DEP_1)
	v_lshlrev_b32_e32 v4, 2, v4
	ds_bpermute_b32 v3, v4, v2
	v_xor_b32_e32 v4, 1, v1
	v_cmp_gt_i32_e32 vcc_lo, 32, v4
	v_cndmask_b32_e32 v4, v1, v4, vcc_lo
	s_wait_dscnt 0x0
	s_delay_alu instid0(VALU_DEP_1) | instskip(SKIP_4) | instid1(VALU_DEP_1)
	v_dual_lshlrev_b32 v4, 2, v4 :: v_dual_add_f32 v2, v2, v3
	ds_bpermute_b32 v3, v4, v2
	v_max_num_f32_e64 v4, s14, s14
	s_wait_dscnt 0x0
	v_add_f32_e32 v2, v2, v3
	v_max_num_f32_e32 v2, v2, v4
	s_delay_alu instid0(VALU_DEP_1) | instskip(NEXT) | instid1(VALU_DEP_1)
	v_div_scale_f32 v3, null, v2, v2, 1.0
	v_rcp_f32_e32 v4, v3
	v_nop
	s_delay_alu instid0(TRANS32_DEP_1) | instskip(NEXT) | instid1(VALU_DEP_1)
	v_fma_f32 v5, -v3, v4, 1.0
	v_fmac_f32_e32 v4, v5, v4
	v_div_scale_f32 v5, vcc_lo, 1.0, v2, 1.0
	s_delay_alu instid0(VALU_DEP_1) | instskip(NEXT) | instid1(VALU_DEP_1)
	v_mul_f32_e32 v6, v5, v4
	v_fma_f32 v7, -v3, v6, v5
	s_delay_alu instid0(VALU_DEP_1) | instskip(NEXT) | instid1(VALU_DEP_1)
	v_fmac_f32_e32 v6, v7, v4
	v_fma_f32 v3, -v3, v6, v5
	s_delay_alu instid0(VALU_DEP_1) | instskip(NEXT) | instid1(VALU_DEP_1)
	v_div_fmas_f32 v3, v3, v4, v6
	v_div_fixup_f32 v2, v3, v2, 1.0
	s_delay_alu instid0(VALU_DEP_1)
	v_mul_f32_e32 v13, v2, v13
	v_cmp_gt_i32_e64 s1, s13, v12
	s_and_not1_b32 vcc_lo, exec_lo, s0
	s_cbranch_vccnz .LBB4_35
.LBB4_39:
	v_xor_b32_e32 v3, 16, v1
	v_xor_b32_e32 v5, 8, v1
	;; [unrolled: 1-line block ×3, first 2 shown]
	s_delay_alu instid0(VALU_DEP_3) | instskip(SKIP_3) | instid1(VALU_DEP_2)
	v_cmp_gt_i32_e32 vcc_lo, 32, v3
	v_cndmask_b32_e32 v3, v1, v3, vcc_lo
	v_max_num_f32_e32 v2, v13, v13
	v_cmp_gt_i32_e32 vcc_lo, 32, v5
	v_dual_max_num_f32 v2, 0xff800000, v2 :: v_dual_lshlrev_b32 v3, 2, v3
	v_cndmask_b32_e32 v5, v1, v5, vcc_lo
	s_delay_alu instid0(VALU_DEP_2) | instskip(SKIP_3) | instid1(VALU_DEP_1)
	v_cndmask_b32_e64 v2, 0xff800000, v2, s1
	ds_bpermute_b32 v4, v3, v2
	s_wait_dscnt 0x0
	v_dual_max_num_f32 v4, v4, v4 :: v_dual_lshlrev_b32 v5, 2, v5
	v_max_num_f32_e32 v2, v2, v4
	ds_bpermute_b32 v4, v5, v2
	s_wait_dscnt 0x0
	v_dual_max_num_f32 v4, v4, v4 :: v_dual_bitop2_b32 v6, 4, v1 bitop3:0x14
	s_delay_alu instid0(VALU_DEP_1) | instskip(NEXT) | instid1(VALU_DEP_2)
	v_cmp_gt_i32_e32 vcc_lo, 32, v6
	v_dual_max_num_f32 v2, v2, v4 :: v_dual_cndmask_b32 v6, v1, v6, vcc_lo
	v_cmp_gt_i32_e32 vcc_lo, 32, v7
	s_delay_alu instid0(VALU_DEP_2) | instskip(SKIP_3) | instid1(VALU_DEP_1)
	v_lshlrev_b32_e32 v6, 2, v6
	ds_bpermute_b32 v4, v6, v2
	s_wait_dscnt 0x0
	v_dual_cndmask_b32 v7, v1, v7 :: v_dual_max_num_f32 v4, v4, v4
	v_dual_max_num_f32 v2, v2, v4 :: v_dual_lshlrev_b32 v7, 2, v7
	ds_bpermute_b32 v4, v7, v2
	s_wait_dscnt 0x0
	v_dual_max_num_f32 v4, v4, v4 :: v_dual_bitop2_b32 v8, 1, v1 bitop3:0x14
	s_delay_alu instid0(VALU_DEP_1) | instskip(SKIP_1) | instid1(VALU_DEP_1)
	v_cmp_gt_i32_e32 vcc_lo, 32, v8
	v_cndmask_b32_e32 v1, v1, v8, vcc_lo
	v_dual_max_num_f32 v1, v2, v4 :: v_dual_lshlrev_b32 v8, 2, v1
	ds_bpermute_b32 v2, v8, v1
	s_wait_dscnt 0x0
	v_max_num_f32_e32 v2, v2, v2
	s_delay_alu instid0(VALU_DEP_1) | instskip(NEXT) | instid1(VALU_DEP_1)
	v_max_num_f32_e32 v1, v1, v2
	v_dual_sub_f32 v1, v13, v1 :: v_dual_mov_b32 v13, 0
	s_delay_alu instid0(VALU_DEP_1) | instskip(NEXT) | instid1(VALU_DEP_1)
	v_mul_f32_e32 v2, 0x3fb8aa3b, v1
	v_fma_f32 v4, 0x3fb8aa3b, v1, -v2
	v_rndne_f32_e32 v9, v2
	s_delay_alu instid0(VALU_DEP_2) | instskip(NEXT) | instid1(VALU_DEP_2)
	v_fmamk_f32 v4, v1, 0x32a5705f, v4
	v_sub_f32_e32 v2, v2, v9
	s_delay_alu instid0(VALU_DEP_1) | instskip(SKIP_2) | instid1(VALU_DEP_3)
	v_add_f32_e32 v2, v2, v4
	v_cvt_i32_f32_e32 v4, v9
	v_cmp_ngt_f32_e32 vcc_lo, 0xc2ce8ed0, v1
	v_exp_f32_e32 v2, v2
	v_nop
	s_delay_alu instid0(TRANS32_DEP_1) | instskip(NEXT) | instid1(VALU_DEP_1)
	v_ldexp_f32 v2, v2, v4
	v_cndmask_b32_e32 v2, 0, v2, vcc_lo
	v_cmp_nlt_f32_e32 vcc_lo, 0x42b17218, v1
	s_delay_alu instid0(VALU_DEP_2) | instskip(NEXT) | instid1(VALU_DEP_1)
	v_cndmask_b32_e32 v1, 0x7f800000, v2, vcc_lo
	v_cndmask_b32_e64 v2, 0, v1, s1
	ds_bpermute_b32 v3, v3, v2
	s_wait_dscnt 0x0
	v_add_f32_e32 v2, v2, v3
	ds_bpermute_b32 v3, v5, v2
	s_wait_dscnt 0x0
	v_add_f32_e32 v2, v2, v3
	;; [unrolled: 3-line block ×4, first 2 shown]
	ds_bpermute_b32 v3, v8, v2
	s_and_saveexec_b32 s0, s1
	s_cbranch_execz .LBB4_41
; %bb.40:
	s_wait_dscnt 0x0
	v_add_f32_e32 v2, v2, v3
	s_delay_alu instid0(VALU_DEP_1) | instskip(NEXT) | instid1(VALU_DEP_1)
	v_div_scale_f32 v3, null, v2, v2, 1.0
	v_rcp_f32_e32 v4, v3
	v_nop
	s_delay_alu instid0(TRANS32_DEP_1) | instskip(NEXT) | instid1(VALU_DEP_1)
	v_fma_f32 v5, -v3, v4, 1.0
	v_fmac_f32_e32 v4, v5, v4
	v_div_scale_f32 v5, vcc_lo, 1.0, v2, 1.0
	s_delay_alu instid0(VALU_DEP_1) | instskip(NEXT) | instid1(VALU_DEP_1)
	v_mul_f32_e32 v6, v5, v4
	v_fma_f32 v7, -v3, v6, v5
	s_delay_alu instid0(VALU_DEP_1) | instskip(NEXT) | instid1(VALU_DEP_1)
	v_fmac_f32_e32 v6, v7, v4
	v_fma_f32 v3, -v3, v6, v5
	s_delay_alu instid0(VALU_DEP_1) | instskip(NEXT) | instid1(VALU_DEP_1)
	v_div_fmas_f32 v3, v3, v4, v6
	v_div_fixup_f32 v2, v3, v2, 1.0
	s_delay_alu instid0(VALU_DEP_1)
	v_mul_f32_e32 v13, v1, v2
.LBB4_41:
	s_or_b32 exec_lo, exec_lo, s0
	v_cmp_gt_i32_e32 vcc_lo, s13, v12
	s_and_b32 exec_lo, exec_lo, vcc_lo
	s_cbranch_execnz .LBB4_36
	s_branch .LBB4_37
	.section	.rodata,"a",@progbits
	.p2align	6, 0x0
	.amdhsa_kernel _Z13topk_moe_cudaILi16ELb1EEvPKfPfPiS2_iiff15topk_moe_config
		.amdhsa_group_segment_fixed_size 0
		.amdhsa_private_segment_fixed_size 0
		.amdhsa_kernarg_size 312
		.amdhsa_user_sgpr_count 2
		.amdhsa_user_sgpr_dispatch_ptr 0
		.amdhsa_user_sgpr_queue_ptr 0
		.amdhsa_user_sgpr_kernarg_segment_ptr 1
		.amdhsa_user_sgpr_dispatch_id 0
		.amdhsa_user_sgpr_kernarg_preload_length 0
		.amdhsa_user_sgpr_kernarg_preload_offset 0
		.amdhsa_user_sgpr_private_segment_size 0
		.amdhsa_wavefront_size32 1
		.amdhsa_uses_dynamic_stack 0
		.amdhsa_enable_private_segment 0
		.amdhsa_system_sgpr_workgroup_id_x 1
		.amdhsa_system_sgpr_workgroup_id_y 0
		.amdhsa_system_sgpr_workgroup_id_z 0
		.amdhsa_system_sgpr_workgroup_info 0
		.amdhsa_system_vgpr_workitem_id 1
		.amdhsa_next_free_vgpr 25
		.amdhsa_next_free_sgpr 16
		.amdhsa_named_barrier_count 0
		.amdhsa_reserve_vcc 1
		.amdhsa_float_round_mode_32 0
		.amdhsa_float_round_mode_16_64 0
		.amdhsa_float_denorm_mode_32 3
		.amdhsa_float_denorm_mode_16_64 3
		.amdhsa_fp16_overflow 0
		.amdhsa_memory_ordered 1
		.amdhsa_forward_progress 1
		.amdhsa_inst_pref_size 24
		.amdhsa_round_robin_scheduling 0
		.amdhsa_exception_fp_ieee_invalid_op 0
		.amdhsa_exception_fp_denorm_src 0
		.amdhsa_exception_fp_ieee_div_zero 0
		.amdhsa_exception_fp_ieee_overflow 0
		.amdhsa_exception_fp_ieee_underflow 0
		.amdhsa_exception_fp_ieee_inexact 0
		.amdhsa_exception_int_div_zero 0
	.end_amdhsa_kernel
	.section	.text._Z13topk_moe_cudaILi16ELb1EEvPKfPfPiS2_iiff15topk_moe_config,"axG",@progbits,_Z13topk_moe_cudaILi16ELb1EEvPKfPfPiS2_iiff15topk_moe_config,comdat
.Lfunc_end4:
	.size	_Z13topk_moe_cudaILi16ELb1EEvPKfPfPiS2_iiff15topk_moe_config, .Lfunc_end4-_Z13topk_moe_cudaILi16ELb1EEvPKfPfPiS2_iiff15topk_moe_config
                                        ; -- End function
	.set _Z13topk_moe_cudaILi16ELb1EEvPKfPfPiS2_iiff15topk_moe_config.num_vgpr, 25
	.set _Z13topk_moe_cudaILi16ELb1EEvPKfPfPiS2_iiff15topk_moe_config.num_agpr, 0
	.set _Z13topk_moe_cudaILi16ELb1EEvPKfPfPiS2_iiff15topk_moe_config.numbered_sgpr, 16
	.set _Z13topk_moe_cudaILi16ELb1EEvPKfPfPiS2_iiff15topk_moe_config.num_named_barrier, 0
	.set _Z13topk_moe_cudaILi16ELb1EEvPKfPfPiS2_iiff15topk_moe_config.private_seg_size, 0
	.set _Z13topk_moe_cudaILi16ELb1EEvPKfPfPiS2_iiff15topk_moe_config.uses_vcc, 1
	.set _Z13topk_moe_cudaILi16ELb1EEvPKfPfPiS2_iiff15topk_moe_config.uses_flat_scratch, 0
	.set _Z13topk_moe_cudaILi16ELb1EEvPKfPfPiS2_iiff15topk_moe_config.has_dyn_sized_stack, 0
	.set _Z13topk_moe_cudaILi16ELb1EEvPKfPfPiS2_iiff15topk_moe_config.has_recursion, 0
	.set _Z13topk_moe_cudaILi16ELb1EEvPKfPfPiS2_iiff15topk_moe_config.has_indirect_call, 0
	.section	.AMDGPU.csdata,"",@progbits
; Kernel info:
; codeLenInByte = 3028
; TotalNumSgprs: 18
; NumVgprs: 25
; ScratchSize: 0
; MemoryBound: 0
; FloatMode: 240
; IeeeMode: 1
; LDSByteSize: 0 bytes/workgroup (compile time only)
; SGPRBlocks: 0
; VGPRBlocks: 1
; NumSGPRsForWavesPerEU: 18
; NumVGPRsForWavesPerEU: 25
; NamedBarCnt: 0
; Occupancy: 16
; WaveLimiterHint : 0
; COMPUTE_PGM_RSRC2:SCRATCH_EN: 0
; COMPUTE_PGM_RSRC2:USER_SGPR: 2
; COMPUTE_PGM_RSRC2:TRAP_HANDLER: 0
; COMPUTE_PGM_RSRC2:TGID_X_EN: 1
; COMPUTE_PGM_RSRC2:TGID_Y_EN: 0
; COMPUTE_PGM_RSRC2:TGID_Z_EN: 0
; COMPUTE_PGM_RSRC2:TIDIG_COMP_CNT: 1
	.section	.text._Z13topk_moe_cudaILi32ELb1EEvPKfPfPiS2_iiff15topk_moe_config,"axG",@progbits,_Z13topk_moe_cudaILi32ELb1EEvPKfPfPiS2_iiff15topk_moe_config,comdat
	.protected	_Z13topk_moe_cudaILi32ELb1EEvPKfPfPiS2_iiff15topk_moe_config ; -- Begin function _Z13topk_moe_cudaILi32ELb1EEvPKfPfPiS2_iiff15topk_moe_config
	.globl	_Z13topk_moe_cudaILi32ELb1EEvPKfPfPiS2_iiff15topk_moe_config
	.p2align	8
	.type	_Z13topk_moe_cudaILi32ELb1EEvPKfPfPiS2_iiff15topk_moe_config,@function
_Z13topk_moe_cudaILi32ELb1EEvPKfPfPiS2_iiff15topk_moe_config: ; @_Z13topk_moe_cudaILi32ELb1EEvPKfPfPiS2_iiff15topk_moe_config
; %bb.0:
	s_clause 0x1
	s_load_u16 s2, s[0:1], 0x46
	s_load_b128 s[12:15], s[0:1], 0x20
	s_bfe_u32 s3, ttmp6, 0x4000c
	s_and_b32 s4, ttmp6, 15
	s_add_co_i32 s3, s3, 1
	v_bfe_u32 v1, v0, 10, 10
	s_mul_i32 s3, ttmp9, s3
	s_delay_alu instid0(SALU_CYCLE_1) | instskip(SKIP_1) | instid1(SALU_CYCLE_1)
	s_add_co_i32 s4, s4, s3
	s_getreg_b32 s3, hwreg(HW_REG_IB_STS2, 6, 4)
	s_cmp_eq_u32 s3, 0
	s_cselect_b32 s3, ttmp9, s4
	s_wait_kmcnt 0x0
	v_mad_u32 v11, s3, s2, v1
	s_mov_b32 s2, exec_lo
	s_delay_alu instid0(VALU_DEP_1)
	v_cmpx_gt_i32_e64 s12, v11
	s_cbranch_execz .LBB5_33
; %bb.1:
	s_load_b256 s[4:11], s[0:1], 0x0
	v_dual_mov_b32 v1, 0 :: v_dual_lshlrev_b32 v2, 5, v11
	v_and_b32_e32 v12, 0x3ff, v0
	s_delay_alu instid0(VALU_DEP_2)
	v_ashrrev_i32_e32 v3, 31, v2
	s_clause 0x1
	global_load_u8 v8, v1, s[0:1] offset:50
	global_load_u16 v5, v1, s[0:1] offset:48
	v_lshlrev_b32_e32 v0, 2, v12
	s_wait_kmcnt 0x0
	v_lshl_add_u64 v[6:7], v[2:3], 2, s[4:5]
	s_delay_alu instid0(VALU_DEP_1)
	v_add_nc_u64_e32 v[6:7], v[6:7], v[0:1]
	global_load_b32 v4, v[6:7], off
	s_wait_loadcnt 0x2
	s_wait_xcnt 0x1
	v_and_b32_e32 v1, 1, v8
	s_wait_loadcnt 0x1
	v_readfirstlane_b32 s1, v5
	s_delay_alu instid0(VALU_DEP_2)
	v_cmp_eq_u32_e64 s0, 1, v1
	s_and_b32 s1, 0xffff, s1
	s_and_b32 vcc_lo, exec_lo, s0
	s_cbranch_vccnz .LBB5_7
; %bb.2:
	v_and_b32_e32 v1, 1, v5
	s_mov_b32 s2, 0
	s_delay_alu instid0(VALU_DEP_1)
	v_cmp_eq_u32_e32 vcc_lo, 0, v1
	s_cbranch_vccz .LBB5_4
; %bb.3:
	v_mbcnt_lo_u32_b32 v1, -1, 0
	s_wait_loadcnt 0x0
	s_delay_alu instid0(VALU_DEP_1) | instskip(SKIP_2) | instid1(VALU_DEP_3)
	v_dual_max_num_f32 v6, v4, v4 :: v_dual_bitop2_b32 v5, 16, v1 bitop3:0x14
	v_xor_b32_e32 v8, 8, v1
	v_xor_b32_e32 v10, 2, v1
	v_max_num_f32_e32 v6, 0xff800000, v6
	s_delay_alu instid0(VALU_DEP_4) | instskip(SKIP_2) | instid1(VALU_DEP_2)
	v_cmp_gt_i32_e32 vcc_lo, 32, v5
	v_cndmask_b32_e32 v5, v1, v5, vcc_lo
	v_cmp_gt_i32_e32 vcc_lo, 32, v8
	v_dual_cndmask_b32 v8, v1, v8 :: v_dual_lshlrev_b32 v5, 2, v5
	ds_bpermute_b32 v7, v5, v6
	s_wait_dscnt 0x0
	v_dual_max_num_f32 v7, v7, v7 :: v_dual_lshlrev_b32 v8, 2, v8
	s_delay_alu instid0(VALU_DEP_1) | instskip(SKIP_3) | instid1(VALU_DEP_1)
	v_max_num_f32_e32 v6, v6, v7
	ds_bpermute_b32 v7, v8, v6
	s_wait_dscnt 0x0
	v_dual_max_num_f32 v7, v7, v7 :: v_dual_bitop2_b32 v9, 4, v1 bitop3:0x14
	v_cmp_gt_i32_e32 vcc_lo, 32, v9
	s_delay_alu instid0(VALU_DEP_2) | instskip(SKIP_1) | instid1(VALU_DEP_2)
	v_dual_max_num_f32 v6, v6, v7 :: v_dual_cndmask_b32 v9, v1, v9
	v_cmp_gt_i32_e32 vcc_lo, 32, v10
	v_dual_cndmask_b32 v10, v1, v10 :: v_dual_lshlrev_b32 v9, 2, v9
	ds_bpermute_b32 v7, v9, v6
	s_wait_dscnt 0x0
	v_dual_max_num_f32 v7, v7, v7 :: v_dual_lshlrev_b32 v10, 2, v10
	s_delay_alu instid0(VALU_DEP_1) | instskip(SKIP_3) | instid1(VALU_DEP_1)
	v_max_num_f32_e32 v6, v6, v7
	ds_bpermute_b32 v7, v10, v6
	s_wait_dscnt 0x0
	v_dual_max_num_f32 v7, v7, v7 :: v_dual_bitop2_b32 v13, 1, v1 bitop3:0x14
	v_cmp_gt_i32_e32 vcc_lo, 32, v13
	s_delay_alu instid0(VALU_DEP_2) | instskip(NEXT) | instid1(VALU_DEP_1)
	v_dual_max_num_f32 v6, v6, v7 :: v_dual_cndmask_b32 v1, v1, v13
	v_lshlrev_b32_e32 v1, 2, v1
	ds_bpermute_b32 v7, v1, v6
	s_wait_dscnt 0x0
	v_max_num_f32_e32 v7, v7, v7
	s_delay_alu instid0(VALU_DEP_1) | instskip(NEXT) | instid1(VALU_DEP_1)
	v_max_num_f32_e32 v6, v6, v7
	v_sub_f32_e32 v6, v4, v6
	s_delay_alu instid0(VALU_DEP_1) | instskip(NEXT) | instid1(VALU_DEP_1)
	v_mul_f32_e32 v7, 0x3fb8aa3b, v6
	v_fma_f32 v13, 0x3fb8aa3b, v6, -v7
	v_rndne_f32_e32 v14, v7
	s_delay_alu instid0(VALU_DEP_2) | instskip(NEXT) | instid1(VALU_DEP_2)
	v_fmamk_f32 v13, v6, 0x32a5705f, v13
	v_sub_f32_e32 v7, v7, v14
	s_delay_alu instid0(VALU_DEP_1) | instskip(SKIP_2) | instid1(VALU_DEP_3)
	v_add_f32_e32 v7, v7, v13
	v_cvt_i32_f32_e32 v13, v14
	v_cmp_ngt_f32_e32 vcc_lo, 0xc2ce8ed0, v6
	v_exp_f32_e32 v7, v7
	v_nop
	s_delay_alu instid0(TRANS32_DEP_1) | instskip(NEXT) | instid1(VALU_DEP_1)
	v_ldexp_f32 v7, v7, v13
	v_cndmask_b32_e32 v7, 0, v7, vcc_lo
	v_cmp_nlt_f32_e32 vcc_lo, 0x42b17218, v6
	s_delay_alu instid0(VALU_DEP_2)
	v_cndmask_b32_e32 v6, 0x7f800000, v7, vcc_lo
	ds_bpermute_b32 v5, v5, v6
	s_wait_dscnt 0x0
	v_add_f32_e32 v5, v6, v5
	ds_bpermute_b32 v7, v8, v5
	s_wait_dscnt 0x0
	v_add_f32_e32 v5, v5, v7
	;; [unrolled: 3-line block ×5, first 2 shown]
	s_delay_alu instid0(VALU_DEP_1) | instskip(NEXT) | instid1(VALU_DEP_1)
	v_div_scale_f32 v5, null, v1, v1, 1.0
	v_rcp_f32_e32 v7, v5
	v_nop
	s_delay_alu instid0(TRANS32_DEP_1) | instskip(NEXT) | instid1(VALU_DEP_1)
	v_fma_f32 v8, -v5, v7, 1.0
	v_fmac_f32_e32 v7, v8, v7
	v_div_scale_f32 v8, vcc_lo, 1.0, v1, 1.0
	s_delay_alu instid0(VALU_DEP_1) | instskip(NEXT) | instid1(VALU_DEP_1)
	v_mul_f32_e32 v9, v8, v7
	v_fma_f32 v10, -v5, v9, v8
	s_delay_alu instid0(VALU_DEP_1) | instskip(NEXT) | instid1(VALU_DEP_1)
	v_fmac_f32_e32 v9, v10, v7
	v_fma_f32 v5, -v5, v9, v8
	s_delay_alu instid0(VALU_DEP_1) | instskip(NEXT) | instid1(VALU_DEP_1)
	v_div_fmas_f32 v5, v5, v7, v9
	v_div_fixup_f32 v1, v5, v1, 1.0
	s_delay_alu instid0(VALU_DEP_1)
	v_mul_f32_e32 v1, v6, v1
	s_and_not1_b32 vcc_lo, exec_lo, s2
	s_cbranch_vccz .LBB5_5
	s_branch .LBB5_6
.LBB5_4:
                                        ; implicit-def: $vgpr1
.LBB5_5:
	s_wait_loadcnt 0x0
	v_mul_f32_e32 v1, 0xbfb8aa3b, v4
	v_cmp_nlt_f32_e32 vcc_lo, 0x42ce8ed0, v4
	s_delay_alu instid0(VALU_DEP_2) | instskip(SKIP_1) | instid1(VALU_DEP_1)
	v_rndne_f32_e32 v5, v1
	v_fma_f32 v6, 0xbfb8aa3b, v4, -v1
	v_dual_sub_f32 v1, v1, v5 :: v_dual_fmamk_f32 v6, v4, 0xb2a5705f, v6
	v_cvt_i32_f32_e32 v5, v5
	s_delay_alu instid0(VALU_DEP_2) | instskip(NEXT) | instid1(VALU_DEP_1)
	v_add_f32_e32 v1, v1, v6
	v_exp_f32_e32 v1, v1
	v_nop
	s_delay_alu instid0(TRANS32_DEP_1) | instskip(NEXT) | instid1(VALU_DEP_1)
	v_ldexp_f32 v1, v1, v5
	v_cndmask_b32_e32 v1, 0, v1, vcc_lo
	v_cmp_ngt_f32_e32 vcc_lo, 0xc2b17218, v4
	s_delay_alu instid0(VALU_DEP_2) | instskip(NEXT) | instid1(VALU_DEP_1)
	v_cndmask_b32_e32 v1, 0x7f800000, v1, vcc_lo
	v_add_f32_e32 v1, 1.0, v1
	s_delay_alu instid0(VALU_DEP_1) | instskip(NEXT) | instid1(VALU_DEP_1)
	v_div_scale_f32 v4, null, v1, v1, 1.0
	v_rcp_f32_e32 v5, v4
	v_nop
	s_delay_alu instid0(TRANS32_DEP_1) | instskip(NEXT) | instid1(VALU_DEP_1)
	v_fma_f32 v6, -v4, v5, 1.0
	v_fmac_f32_e32 v5, v6, v5
	v_div_scale_f32 v6, vcc_lo, 1.0, v1, 1.0
	s_delay_alu instid0(VALU_DEP_1) | instskip(NEXT) | instid1(VALU_DEP_1)
	v_mul_f32_e32 v7, v6, v5
	v_fma_f32 v8, -v4, v7, v6
	s_delay_alu instid0(VALU_DEP_1) | instskip(NEXT) | instid1(VALU_DEP_1)
	v_fmac_f32_e32 v7, v8, v5
	v_fma_f32 v4, -v4, v7, v6
	s_delay_alu instid0(VALU_DEP_1) | instskip(NEXT) | instid1(VALU_DEP_1)
	v_div_fmas_f32 v4, v4, v5, v7
	v_div_fixup_f32 v1, v4, v1, 1.0
.LBB5_6:
	s_wait_loadcnt 0x0
	s_delay_alu instid0(VALU_DEP_1)
	v_mov_b32_e32 v4, v1
.LBB5_7:
	s_lshr_b32 s1, s1, 8
	s_cmp_gt_i32 s13, 0
	s_mov_b32 s2, 0
	s_cbranch_scc1 .LBB5_9
; %bb.8:
	s_bitcmp1_b32 s1, 0
	s_cselect_b32 s3, -1, 0
	s_branch .LBB5_10
.LBB5_9:
	s_mov_b32 s2, -1
                                        ; implicit-def: $sgpr3
.LBB5_10:
	v_dual_mov_b32 v14, 0 :: v_dual_mov_b32 v13, 0
	v_mbcnt_lo_u32_b32 v1, -1, 0
	s_and_not1_b32 vcc_lo, exec_lo, s2
	s_cbranch_vccnz .LBB5_29
; %bb.11:
	global_load_b32 v5, v12, s[10:11] scale_offset
	s_wait_loadcnt 0x1
	v_cmp_o_f32_e32 vcc_lo, v4, v4
	v_dual_mov_b32 v14, 0 :: v_dual_bitop2_b32 v6, 16, v1 bitop3:0x14
	v_lshl_add_u64 v[2:3], v[2:3], 2, s[8:9]
	v_dual_mov_b32 v13, 0 :: v_dual_cndmask_b32 v4, 0xff7fffff, v4
	s_delay_alu instid0(VALU_DEP_3)
	v_cmp_gt_i32_e32 vcc_lo, 32, v6
	v_xor_b32_e32 v7, 8, v1
	s_bitcmp1_b32 s1, 0
	s_mov_b32 s4, 0
	s_cselect_b32 s3, -1, 0
	v_cndmask_b32_e32 v6, v1, v6, vcc_lo
	v_cmp_gt_i32_e32 vcc_lo, 32, v7
	s_delay_alu instid0(VALU_DEP_2) | instskip(SKIP_1) | instid1(VALU_DEP_2)
	v_dual_lshlrev_b32 v15, 2, v6 :: v_dual_bitop2_b32 v8, 4, v1 bitop3:0x14
	v_cndmask_b32_e32 v7, v1, v7, vcc_lo
	v_cmp_gt_i32_e32 vcc_lo, 32, v8
	v_xor_b32_e32 v9, 2, v1
	s_delay_alu instid0(VALU_DEP_3) | instskip(SKIP_1) | instid1(VALU_DEP_3)
	v_dual_lshlrev_b32 v16, 2, v7 :: v_dual_bitop2_b32 v10, 1, v1 bitop3:0x14
	v_cndmask_b32_e32 v8, v1, v8, vcc_lo
	v_cmp_gt_i32_e32 vcc_lo, 32, v9
	v_cndmask_b32_e32 v9, v1, v9, vcc_lo
	s_delay_alu instid0(VALU_DEP_4) | instskip(NEXT) | instid1(VALU_DEP_4)
	v_cmp_gt_i32_e32 vcc_lo, 32, v10
	v_dual_cndmask_b32 v10, v1, v10 :: v_dual_lshlrev_b32 v17, 2, v8
	s_delay_alu instid0(VALU_DEP_1)
	v_dual_lshlrev_b32 v18, 2, v9 :: v_dual_lshlrev_b32 v19, 2, v10
	s_wait_loadcnt 0x0
	v_add_f32_e32 v5, v4, v5
	s_branch .LBB5_13
.LBB5_12:                               ;   in Loop: Header=BB5_13 Depth=1
	s_wait_xcnt 0x0
	s_or_b32 exec_lo, exec_lo, s1
	s_and_b32 s1, s4, 31
	v_cndmask_b32_e64 v5, v5, 0xff800000, vcc_lo
	v_cmp_eq_u32_e32 vcc_lo, s1, v12
	v_add_nc_u64_e32 v[2:3], 4, v[2:3]
	s_add_co_i32 s4, s4, 1
	s_delay_alu instid0(SALU_CYCLE_1)
	s_cmp_eq_u32 s13, s4
	v_cndmask_b32_e32 v13, v13, v6, vcc_lo
	s_cbranch_scc1 .LBB5_29
.LBB5_13:                               ; =>This Inner Loop Header: Depth=1
	ds_bpermute_b32 v9, v15, v5
	ds_bpermute_b32 v10, v15, v12
	;; [unrolled: 1-line block ×3, first 2 shown]
	v_mov_b64_e32 v[6:7], v[4:5]
	v_dual_mov_b32 v20, v5 :: v_dual_mov_b32 v22, v4
	v_mov_b32_e32 v21, v12
	s_wait_dscnt 0x2
	v_cmp_eq_f32_e64 s1, v5, v9
	s_wait_dscnt 0x1
	v_cmp_lt_i32_e64 s2, v10, v12
	v_cmp_lt_f32_e32 vcc_lo, v5, v9
	s_and_b32 s1, s1, s2
	s_delay_alu instid0(SALU_CYCLE_1) | instskip(NEXT) | instid1(SALU_CYCLE_1)
	s_or_b32 s2, vcc_lo, s1
	s_and_saveexec_b32 s1, s2
	s_cbranch_execz .LBB5_15
; %bb.14:                               ;   in Loop: Header=BB5_13 Depth=1
	s_wait_dscnt 0x0
	v_mov_b64_e32 v[6:7], v[8:9]
	v_dual_mov_b32 v20, v9 :: v_dual_mov_b32 v22, v8
	v_mov_b32_e32 v21, v10
.LBB5_15:                               ;   in Loop: Header=BB5_13 Depth=1
	s_or_b32 exec_lo, exec_lo, s1
	ds_bpermute_b32 v24, v16, v20
	ds_bpermute_b32 v10, v16, v22
	;; [unrolled: 1-line block ×3, first 2 shown]
	s_mov_b32 s5, exec_lo
	s_wait_dscnt 0x2
	v_cmp_lt_f32_e64 s2, v7, v24
	v_cmpx_nlt_f32_e32 v7, v24
	s_cbranch_execz .LBB5_17
; %bb.16:                               ;   in Loop: Header=BB5_13 Depth=1
	v_cmp_eq_f32_e32 vcc_lo, v7, v24
	s_wait_dscnt 0x0
	v_cmp_lt_i32_e64 s1, v23, v21
	s_and_not1_b32 s2, s2, exec_lo
	s_and_b32 s1, vcc_lo, s1
	s_delay_alu instid0(SALU_CYCLE_1) | instskip(NEXT) | instid1(SALU_CYCLE_1)
	s_and_b32 s1, s1, exec_lo
	s_or_b32 s2, s2, s1
.LBB5_17:                               ;   in Loop: Header=BB5_13 Depth=1
	s_or_b32 exec_lo, exec_lo, s5
	v_mov_b64_e32 v[8:9], v[6:7]
	s_and_saveexec_b32 s1, s2
	s_cbranch_execz .LBB5_19
; %bb.18:                               ;   in Loop: Header=BB5_13 Depth=1
	s_wait_dscnt 0x1
	v_mov_b64_e32 v[8:9], v[10:11]
	v_dual_mov_b32 v7, v24 :: v_dual_mov_b32 v20, v24
	s_wait_dscnt 0x0
	v_dual_mov_b32 v22, v10 :: v_dual_mov_b32 v21, v23
.LBB5_19:                               ;   in Loop: Header=BB5_13 Depth=1
	s_or_b32 exec_lo, exec_lo, s1
	s_wait_dscnt 0x1
	ds_bpermute_b32 v10, v17, v20
	ds_bpermute_b32 v6, v17, v22
	;; [unrolled: 1-line block ×3, first 2 shown]
	s_mov_b32 s5, exec_lo
	s_wait_dscnt 0x2
	v_cmp_lt_f32_e64 s2, v7, v10
	v_cmpx_nlt_f32_e32 v7, v10
	s_cbranch_execz .LBB5_21
; %bb.20:                               ;   in Loop: Header=BB5_13 Depth=1
	v_cmp_eq_f32_e32 vcc_lo, v7, v10
	s_wait_dscnt 0x0
	v_cmp_lt_i32_e64 s1, v9, v21
	s_and_not1_b32 s2, s2, exec_lo
	s_and_b32 s1, vcc_lo, s1
	s_delay_alu instid0(SALU_CYCLE_1) | instskip(NEXT) | instid1(SALU_CYCLE_1)
	s_and_b32 s1, s1, exec_lo
	s_or_b32 s2, s2, s1
.LBB5_21:                               ;   in Loop: Header=BB5_13 Depth=1
	s_or_b32 exec_lo, exec_lo, s5
	s_and_saveexec_b32 s1, s2
	s_cbranch_execz .LBB5_23
; %bb.22:                               ;   in Loop: Header=BB5_13 Depth=1
	v_dual_mov_b32 v7, v10 :: v_dual_mov_b32 v20, v10
	s_wait_dscnt 0x0
	v_dual_mov_b32 v22, v6 :: v_dual_mov_b32 v21, v9
	s_delay_alu instid0(VALU_DEP_2)
	v_mov_b64_e32 v[8:9], v[6:7]
.LBB5_23:                               ;   in Loop: Header=BB5_13 Depth=1
	s_or_b32 exec_lo, exec_lo, s1
	ds_bpermute_b32 v10, v18, v20
	s_wait_dscnt 0x2
	ds_bpermute_b32 v6, v18, v22
	s_wait_dscnt 0x2
	ds_bpermute_b32 v9, v18, v21
	s_mov_b32 s5, exec_lo
	s_wait_dscnt 0x2
	v_cmp_lt_f32_e64 s2, v7, v10
	v_cmpx_nlt_f32_e32 v7, v10
	s_cbranch_execz .LBB5_25
; %bb.24:                               ;   in Loop: Header=BB5_13 Depth=1
	v_cmp_eq_f32_e32 vcc_lo, v7, v10
	s_wait_dscnt 0x0
	v_cmp_lt_i32_e64 s1, v9, v21
	s_and_not1_b32 s2, s2, exec_lo
	s_and_b32 s1, vcc_lo, s1
	s_delay_alu instid0(SALU_CYCLE_1) | instskip(NEXT) | instid1(SALU_CYCLE_1)
	s_and_b32 s1, s1, exec_lo
	s_or_b32 s2, s2, s1
.LBB5_25:                               ;   in Loop: Header=BB5_13 Depth=1
	s_or_b32 exec_lo, exec_lo, s5
	s_and_saveexec_b32 s1, s2
	s_cbranch_execz .LBB5_27
; %bb.26:                               ;   in Loop: Header=BB5_13 Depth=1
	v_dual_mov_b32 v7, v10 :: v_dual_mov_b32 v20, v10
	s_wait_dscnt 0x0
	v_dual_mov_b32 v22, v6 :: v_dual_mov_b32 v21, v9
	s_delay_alu instid0(VALU_DEP_2)
	v_mov_b64_e32 v[8:9], v[6:7]
.LBB5_27:                               ;   in Loop: Header=BB5_13 Depth=1
	s_or_b32 exec_lo, exec_lo, s1
	s_wait_dscnt 0x1
	ds_bpermute_b32 v6, v19, v20
	s_wait_dscnt 0x1
	ds_bpermute_b32 v9, v19, v21
	ds_bpermute_b32 v10, v19, v22
	s_wait_dscnt 0x2
	v_cmp_eq_f32_e32 vcc_lo, v7, v6
	s_wait_dscnt 0x1
	v_cmp_lt_i32_e64 s1, v9, v21
	v_cmp_lt_f32_e64 s2, v7, v6
	s_and_b32 s1, vcc_lo, s1
	s_delay_alu instid0(SALU_CYCLE_1) | instskip(SKIP_2) | instid1(VALU_DEP_1)
	s_or_b32 vcc_lo, s2, s1
	s_wait_dscnt 0x0
	v_dual_cndmask_b32 v6, v8, v10 :: v_dual_cndmask_b32 v7, v21, v9
	v_and_b32_e32 v8, 31, v7
	s_delay_alu instid0(VALU_DEP_1)
	v_cmp_eq_u32_e32 vcc_lo, v8, v12
	s_and_saveexec_b32 s1, vcc_lo
	s_cbranch_execz .LBB5_12
; %bb.28:                               ;   in Loop: Header=BB5_13 Depth=1
	v_add_f32_e32 v8, v14, v6
	global_store_b32 v[2:3], v7, off
	v_cndmask_b32_e64 v14, v14, v8, s3
	s_branch .LBB5_12
.LBB5_29:
	s_and_b32 vcc_lo, exec_lo, s3
	s_cbranch_vccnz .LBB5_34
; %bb.30:
	v_cmp_gt_i32_e64 s1, s13, v12
	s_and_not1_b32 vcc_lo, exec_lo, s0
	s_cbranch_vccz .LBB5_35
.LBB5_31:
	v_cmp_gt_i32_e32 vcc_lo, s13, v12
	s_wait_xcnt 0x0
	s_and_b32 exec_lo, exec_lo, vcc_lo
	s_cbranch_execz .LBB5_33
.LBB5_32:
	v_mul_lo_u32 v2, v11, s13
	s_wait_dscnt 0x0
	s_delay_alu instid0(VALU_DEP_1) | instskip(NEXT) | instid1(VALU_DEP_1)
	v_dual_mov_b32 v1, 0 :: v_dual_ashrrev_i32 v3, 31, v2
	v_lshl_add_u64 v[2:3], v[2:3], 2, s[6:7]
	s_delay_alu instid0(VALU_DEP_1)
	v_add_nc_u64_e32 v[0:1], v[2:3], v[0:1]
	v_mul_f32_e32 v2, s15, v13
	global_store_b32 v[0:1], v2, off
.LBB5_33:
	s_endpgm
.LBB5_34:
	v_xor_b32_e32 v3, 8, v1
	v_xor_b32_e32 v2, 16, v1
	s_wait_loadcnt 0x0
	v_xor_b32_e32 v4, 4, v1
	s_delay_alu instid0(VALU_DEP_2) | instskip(SKIP_4) | instid1(VALU_DEP_2)
	v_cmp_gt_i32_e32 vcc_lo, 32, v2
	v_cndmask_b32_e32 v2, v1, v2, vcc_lo
	v_cmp_gt_i32_e32 vcc_lo, 32, v3
	v_cndmask_b32_e32 v3, v1, v3, vcc_lo
	v_cmp_gt_i32_e32 vcc_lo, 32, v4
	v_dual_lshlrev_b32 v3, 2, v3 :: v_dual_lshlrev_b32 v2, 2, v2
	ds_bpermute_b32 v2, v2, v14
	s_wait_dscnt 0x0
	v_add_f32_e32 v2, v14, v2
	ds_bpermute_b32 v3, v3, v2
	s_wait_dscnt 0x0
	v_dual_cndmask_b32 v4, v1, v4, vcc_lo :: v_dual_add_f32 v2, v2, v3
	s_delay_alu instid0(VALU_DEP_1) | instskip(SKIP_3) | instid1(VALU_DEP_1)
	v_lshlrev_b32_e32 v4, 2, v4
	ds_bpermute_b32 v3, v4, v2
	s_wait_dscnt 0x0
	v_dual_add_f32 v2, v2, v3 :: v_dual_bitop2_b32 v4, 2, v1 bitop3:0x14
	v_cmp_gt_i32_e32 vcc_lo, 32, v4
	v_cndmask_b32_e32 v4, v1, v4, vcc_lo
	s_delay_alu instid0(VALU_DEP_1) | instskip(SKIP_2) | instid1(VALU_DEP_1)
	v_lshlrev_b32_e32 v4, 2, v4
	ds_bpermute_b32 v3, v4, v2
	v_xor_b32_e32 v4, 1, v1
	v_cmp_gt_i32_e32 vcc_lo, 32, v4
	v_cndmask_b32_e32 v4, v1, v4, vcc_lo
	s_wait_dscnt 0x0
	s_delay_alu instid0(VALU_DEP_1) | instskip(SKIP_4) | instid1(VALU_DEP_1)
	v_dual_lshlrev_b32 v4, 2, v4 :: v_dual_add_f32 v2, v2, v3
	ds_bpermute_b32 v3, v4, v2
	v_max_num_f32_e64 v4, s14, s14
	s_wait_dscnt 0x0
	v_add_f32_e32 v2, v2, v3
	v_max_num_f32_e32 v2, v2, v4
	s_delay_alu instid0(VALU_DEP_1) | instskip(NEXT) | instid1(VALU_DEP_1)
	v_div_scale_f32 v3, null, v2, v2, 1.0
	v_rcp_f32_e32 v4, v3
	v_nop
	s_delay_alu instid0(TRANS32_DEP_1) | instskip(NEXT) | instid1(VALU_DEP_1)
	v_fma_f32 v5, -v3, v4, 1.0
	v_fmac_f32_e32 v4, v5, v4
	v_div_scale_f32 v5, vcc_lo, 1.0, v2, 1.0
	s_wait_xcnt 0x0
	s_delay_alu instid0(VALU_DEP_1) | instskip(NEXT) | instid1(VALU_DEP_1)
	v_mul_f32_e32 v6, v5, v4
	v_fma_f32 v7, -v3, v6, v5
	s_delay_alu instid0(VALU_DEP_1) | instskip(NEXT) | instid1(VALU_DEP_1)
	v_fmac_f32_e32 v6, v7, v4
	v_fma_f32 v3, -v3, v6, v5
	s_delay_alu instid0(VALU_DEP_1) | instskip(NEXT) | instid1(VALU_DEP_1)
	v_div_fmas_f32 v3, v3, v4, v6
	v_div_fixup_f32 v2, v3, v2, 1.0
	s_delay_alu instid0(VALU_DEP_1)
	v_mul_f32_e32 v13, v2, v13
	v_cmp_gt_i32_e64 s1, s13, v12
	s_and_not1_b32 vcc_lo, exec_lo, s0
	s_cbranch_vccnz .LBB5_31
.LBB5_35:
	v_xor_b32_e32 v3, 16, v1
	v_xor_b32_e32 v5, 8, v1
	s_wait_xcnt 0x0
	v_xor_b32_e32 v7, 2, v1
	s_delay_alu instid0(VALU_DEP_3) | instskip(SKIP_3) | instid1(VALU_DEP_2)
	v_cmp_gt_i32_e32 vcc_lo, 32, v3
	v_cndmask_b32_e32 v3, v1, v3, vcc_lo
	v_max_num_f32_e32 v2, v13, v13
	v_cmp_gt_i32_e32 vcc_lo, 32, v5
	v_dual_max_num_f32 v2, 0xff800000, v2 :: v_dual_lshlrev_b32 v3, 2, v3
	v_cndmask_b32_e32 v5, v1, v5, vcc_lo
	s_delay_alu instid0(VALU_DEP_2) | instskip(SKIP_4) | instid1(VALU_DEP_1)
	v_cndmask_b32_e64 v2, 0xff800000, v2, s1
	s_wait_loadcnt 0x0
	ds_bpermute_b32 v4, v3, v2
	s_wait_dscnt 0x0
	v_dual_max_num_f32 v4, v4, v4 :: v_dual_lshlrev_b32 v5, 2, v5
	v_max_num_f32_e32 v2, v2, v4
	ds_bpermute_b32 v4, v5, v2
	s_wait_dscnt 0x0
	v_dual_max_num_f32 v4, v4, v4 :: v_dual_bitop2_b32 v6, 4, v1 bitop3:0x14
	s_delay_alu instid0(VALU_DEP_1) | instskip(NEXT) | instid1(VALU_DEP_2)
	v_cmp_gt_i32_e32 vcc_lo, 32, v6
	v_dual_max_num_f32 v2, v2, v4 :: v_dual_cndmask_b32 v6, v1, v6, vcc_lo
	v_cmp_gt_i32_e32 vcc_lo, 32, v7
	s_delay_alu instid0(VALU_DEP_2) | instskip(SKIP_3) | instid1(VALU_DEP_1)
	v_lshlrev_b32_e32 v6, 2, v6
	ds_bpermute_b32 v4, v6, v2
	s_wait_dscnt 0x0
	v_dual_cndmask_b32 v7, v1, v7 :: v_dual_max_num_f32 v4, v4, v4
	v_dual_max_num_f32 v2, v2, v4 :: v_dual_lshlrev_b32 v7, 2, v7
	ds_bpermute_b32 v4, v7, v2
	s_wait_dscnt 0x0
	v_dual_max_num_f32 v4, v4, v4 :: v_dual_bitop2_b32 v8, 1, v1 bitop3:0x14
	s_delay_alu instid0(VALU_DEP_1) | instskip(SKIP_1) | instid1(VALU_DEP_1)
	v_cmp_gt_i32_e32 vcc_lo, 32, v8
	v_cndmask_b32_e32 v1, v1, v8, vcc_lo
	v_dual_max_num_f32 v1, v2, v4 :: v_dual_lshlrev_b32 v8, 2, v1
	ds_bpermute_b32 v2, v8, v1
	s_wait_dscnt 0x0
	v_max_num_f32_e32 v2, v2, v2
	s_delay_alu instid0(VALU_DEP_1) | instskip(NEXT) | instid1(VALU_DEP_1)
	v_max_num_f32_e32 v1, v1, v2
	v_dual_sub_f32 v1, v13, v1 :: v_dual_mov_b32 v13, 0
	s_delay_alu instid0(VALU_DEP_1) | instskip(NEXT) | instid1(VALU_DEP_1)
	v_mul_f32_e32 v2, 0x3fb8aa3b, v1
	v_fma_f32 v4, 0x3fb8aa3b, v1, -v2
	v_rndne_f32_e32 v9, v2
	s_delay_alu instid0(VALU_DEP_2) | instskip(NEXT) | instid1(VALU_DEP_2)
	v_fmamk_f32 v4, v1, 0x32a5705f, v4
	v_sub_f32_e32 v2, v2, v9
	s_delay_alu instid0(VALU_DEP_1) | instskip(SKIP_2) | instid1(VALU_DEP_3)
	v_add_f32_e32 v2, v2, v4
	v_cvt_i32_f32_e32 v4, v9
	v_cmp_ngt_f32_e32 vcc_lo, 0xc2ce8ed0, v1
	v_exp_f32_e32 v2, v2
	v_nop
	s_delay_alu instid0(TRANS32_DEP_1) | instskip(NEXT) | instid1(VALU_DEP_1)
	v_ldexp_f32 v2, v2, v4
	v_cndmask_b32_e32 v2, 0, v2, vcc_lo
	v_cmp_nlt_f32_e32 vcc_lo, 0x42b17218, v1
	s_delay_alu instid0(VALU_DEP_2) | instskip(NEXT) | instid1(VALU_DEP_1)
	v_cndmask_b32_e32 v1, 0x7f800000, v2, vcc_lo
	v_cndmask_b32_e64 v2, 0, v1, s1
	ds_bpermute_b32 v3, v3, v2
	s_wait_dscnt 0x0
	v_add_f32_e32 v2, v2, v3
	ds_bpermute_b32 v3, v5, v2
	s_wait_dscnt 0x0
	v_add_f32_e32 v2, v2, v3
	;; [unrolled: 3-line block ×4, first 2 shown]
	ds_bpermute_b32 v3, v8, v2
	s_and_saveexec_b32 s0, s1
	s_cbranch_execz .LBB5_37
; %bb.36:
	s_wait_dscnt 0x0
	v_add_f32_e32 v2, v2, v3
	s_delay_alu instid0(VALU_DEP_1) | instskip(NEXT) | instid1(VALU_DEP_1)
	v_div_scale_f32 v3, null, v2, v2, 1.0
	v_rcp_f32_e32 v4, v3
	v_nop
	s_delay_alu instid0(TRANS32_DEP_1) | instskip(NEXT) | instid1(VALU_DEP_1)
	v_fma_f32 v5, -v3, v4, 1.0
	v_fmac_f32_e32 v4, v5, v4
	v_div_scale_f32 v5, vcc_lo, 1.0, v2, 1.0
	s_delay_alu instid0(VALU_DEP_1) | instskip(NEXT) | instid1(VALU_DEP_1)
	v_mul_f32_e32 v6, v5, v4
	v_fma_f32 v7, -v3, v6, v5
	s_delay_alu instid0(VALU_DEP_1) | instskip(NEXT) | instid1(VALU_DEP_1)
	v_fmac_f32_e32 v6, v7, v4
	v_fma_f32 v3, -v3, v6, v5
	s_delay_alu instid0(VALU_DEP_1) | instskip(NEXT) | instid1(VALU_DEP_1)
	v_div_fmas_f32 v3, v3, v4, v6
	v_div_fixup_f32 v2, v3, v2, 1.0
	s_delay_alu instid0(VALU_DEP_1)
	v_mul_f32_e32 v13, v1, v2
.LBB5_37:
	s_or_b32 exec_lo, exec_lo, s0
	v_cmp_gt_i32_e32 vcc_lo, s13, v12
	s_and_b32 exec_lo, exec_lo, vcc_lo
	s_cbranch_execnz .LBB5_32
	s_branch .LBB5_33
	.section	.rodata,"a",@progbits
	.p2align	6, 0x0
	.amdhsa_kernel _Z13topk_moe_cudaILi32ELb1EEvPKfPfPiS2_iiff15topk_moe_config
		.amdhsa_group_segment_fixed_size 0
		.amdhsa_private_segment_fixed_size 0
		.amdhsa_kernarg_size 312
		.amdhsa_user_sgpr_count 2
		.amdhsa_user_sgpr_dispatch_ptr 0
		.amdhsa_user_sgpr_queue_ptr 0
		.amdhsa_user_sgpr_kernarg_segment_ptr 1
		.amdhsa_user_sgpr_dispatch_id 0
		.amdhsa_user_sgpr_kernarg_preload_length 0
		.amdhsa_user_sgpr_kernarg_preload_offset 0
		.amdhsa_user_sgpr_private_segment_size 0
		.amdhsa_wavefront_size32 1
		.amdhsa_uses_dynamic_stack 0
		.amdhsa_enable_private_segment 0
		.amdhsa_system_sgpr_workgroup_id_x 1
		.amdhsa_system_sgpr_workgroup_id_y 0
		.amdhsa_system_sgpr_workgroup_id_z 0
		.amdhsa_system_sgpr_workgroup_info 0
		.amdhsa_system_vgpr_workitem_id 1
		.amdhsa_next_free_vgpr 25
		.amdhsa_next_free_sgpr 16
		.amdhsa_named_barrier_count 0
		.amdhsa_reserve_vcc 1
		.amdhsa_float_round_mode_32 0
		.amdhsa_float_round_mode_16_64 0
		.amdhsa_float_denorm_mode_32 3
		.amdhsa_float_denorm_mode_16_64 3
		.amdhsa_fp16_overflow 0
		.amdhsa_memory_ordered 1
		.amdhsa_forward_progress 1
		.amdhsa_inst_pref_size 24
		.amdhsa_round_robin_scheduling 0
		.amdhsa_exception_fp_ieee_invalid_op 0
		.amdhsa_exception_fp_denorm_src 0
		.amdhsa_exception_fp_ieee_div_zero 0
		.amdhsa_exception_fp_ieee_overflow 0
		.amdhsa_exception_fp_ieee_underflow 0
		.amdhsa_exception_fp_ieee_inexact 0
		.amdhsa_exception_int_div_zero 0
	.end_amdhsa_kernel
	.section	.text._Z13topk_moe_cudaILi32ELb1EEvPKfPfPiS2_iiff15topk_moe_config,"axG",@progbits,_Z13topk_moe_cudaILi32ELb1EEvPKfPfPiS2_iiff15topk_moe_config,comdat
.Lfunc_end5:
	.size	_Z13topk_moe_cudaILi32ELb1EEvPKfPfPiS2_iiff15topk_moe_config, .Lfunc_end5-_Z13topk_moe_cudaILi32ELb1EEvPKfPfPiS2_iiff15topk_moe_config
                                        ; -- End function
	.set _Z13topk_moe_cudaILi32ELb1EEvPKfPfPiS2_iiff15topk_moe_config.num_vgpr, 25
	.set _Z13topk_moe_cudaILi32ELb1EEvPKfPfPiS2_iiff15topk_moe_config.num_agpr, 0
	.set _Z13topk_moe_cudaILi32ELb1EEvPKfPfPiS2_iiff15topk_moe_config.numbered_sgpr, 16
	.set _Z13topk_moe_cudaILi32ELb1EEvPKfPfPiS2_iiff15topk_moe_config.num_named_barrier, 0
	.set _Z13topk_moe_cudaILi32ELb1EEvPKfPfPiS2_iiff15topk_moe_config.private_seg_size, 0
	.set _Z13topk_moe_cudaILi32ELb1EEvPKfPfPiS2_iiff15topk_moe_config.uses_vcc, 1
	.set _Z13topk_moe_cudaILi32ELb1EEvPKfPfPiS2_iiff15topk_moe_config.uses_flat_scratch, 0
	.set _Z13topk_moe_cudaILi32ELb1EEvPKfPfPiS2_iiff15topk_moe_config.has_dyn_sized_stack, 0
	.set _Z13topk_moe_cudaILi32ELb1EEvPKfPfPiS2_iiff15topk_moe_config.has_recursion, 0
	.set _Z13topk_moe_cudaILi32ELb1EEvPKfPfPiS2_iiff15topk_moe_config.has_indirect_call, 0
	.section	.AMDGPU.csdata,"",@progbits
; Kernel info:
; codeLenInByte = 3004
; TotalNumSgprs: 18
; NumVgprs: 25
; ScratchSize: 0
; MemoryBound: 0
; FloatMode: 240
; IeeeMode: 1
; LDSByteSize: 0 bytes/workgroup (compile time only)
; SGPRBlocks: 0
; VGPRBlocks: 1
; NumSGPRsForWavesPerEU: 18
; NumVGPRsForWavesPerEU: 25
; NamedBarCnt: 0
; Occupancy: 16
; WaveLimiterHint : 0
; COMPUTE_PGM_RSRC2:SCRATCH_EN: 0
; COMPUTE_PGM_RSRC2:USER_SGPR: 2
; COMPUTE_PGM_RSRC2:TRAP_HANDLER: 0
; COMPUTE_PGM_RSRC2:TGID_X_EN: 1
; COMPUTE_PGM_RSRC2:TGID_Y_EN: 0
; COMPUTE_PGM_RSRC2:TGID_Z_EN: 0
; COMPUTE_PGM_RSRC2:TIDIG_COMP_CNT: 1
	.section	.text._Z13topk_moe_cudaILi64ELb1EEvPKfPfPiS2_iiff15topk_moe_config,"axG",@progbits,_Z13topk_moe_cudaILi64ELb1EEvPKfPfPiS2_iiff15topk_moe_config,comdat
	.protected	_Z13topk_moe_cudaILi64ELb1EEvPKfPfPiS2_iiff15topk_moe_config ; -- Begin function _Z13topk_moe_cudaILi64ELb1EEvPKfPfPiS2_iiff15topk_moe_config
	.globl	_Z13topk_moe_cudaILi64ELb1EEvPKfPfPiS2_iiff15topk_moe_config
	.p2align	8
	.type	_Z13topk_moe_cudaILi64ELb1EEvPKfPfPiS2_iiff15topk_moe_config,@function
_Z13topk_moe_cudaILi64ELb1EEvPKfPfPiS2_iiff15topk_moe_config: ; @_Z13topk_moe_cudaILi64ELb1EEvPKfPfPiS2_iiff15topk_moe_config
; %bb.0:
	s_clause 0x1
	s_load_u16 s2, s[0:1], 0x46
	s_load_b128 s[12:15], s[0:1], 0x20
	s_bfe_u32 s3, ttmp6, 0x4000c
	s_and_b32 s4, ttmp6, 15
	s_add_co_i32 s3, s3, 1
	v_bfe_u32 v1, v0, 10, 10
	s_mul_i32 s3, ttmp9, s3
	s_delay_alu instid0(SALU_CYCLE_1) | instskip(SKIP_1) | instid1(SALU_CYCLE_1)
	s_add_co_i32 s4, s4, s3
	s_getreg_b32 s3, hwreg(HW_REG_IB_STS2, 6, 4)
	s_cmp_eq_u32 s3, 0
	s_cselect_b32 s3, ttmp9, s4
	s_wait_kmcnt 0x0
	v_mad_u32 v3, s3, s2, v1
	s_mov_b32 s2, exec_lo
	s_delay_alu instid0(VALU_DEP_1)
	v_cmpx_gt_i32_e64 s12, v3
	s_cbranch_execz .LBB6_18
; %bb.1:
	s_load_b256 s[4:11], s[0:1], 0x0
	v_dual_mov_b32 v1, 0 :: v_dual_lshlrev_b32 v4, 6, v3
	v_and_b32_e32 v2, 0x3ff, v0
	s_delay_alu instid0(VALU_DEP_2)
	v_ashrrev_i32_e32 v5, 31, v4
	s_clause 0x1
	global_load_u8 v7, v1, s[0:1] offset:50
	global_load_u16 v6, v1, s[0:1] offset:48
	v_lshlrev_b32_e32 v0, 2, v2
	s_wait_kmcnt 0x0
	v_lshl_add_u64 v[8:9], v[4:5], 2, s[4:5]
	s_delay_alu instid0(VALU_DEP_1)
	v_add_nc_u64_e32 v[10:11], v[8:9], v[0:1]
	s_clause 0x1
	global_load_b32 v9, v[10:11], off
	global_load_b32 v8, v[10:11], off offset:128
	s_wait_loadcnt 0x3
	s_wait_xcnt 0x2
	v_and_b32_e32 v1, 1, v7
	s_wait_loadcnt 0x2
	v_readfirstlane_b32 s1, v6
	s_delay_alu instid0(VALU_DEP_2)
	v_cmp_eq_u32_e64 s0, 1, v1
	s_and_b32 s2, 0xffff, s1
	s_and_b32 vcc_lo, exec_lo, s0
	s_cbranch_vccnz .LBB6_7
; %bb.2:
	v_and_b32_e32 v1, 1, v6
	s_mov_b32 s1, 0
	s_delay_alu instid0(VALU_DEP_1)
	v_cmp_eq_u32_e32 vcc_lo, 0, v1
	s_cbranch_vccz .LBB6_4
; %bb.3:
	v_mbcnt_lo_u32_b32 v1, -1, 0
	s_wait_loadcnt 0x0
	v_max3_num_f32 v7, v9, 0xff800000, v8
	s_delay_alu instid0(VALU_DEP_2) | instskip(SKIP_2) | instid1(VALU_DEP_2)
	v_xor_b32_e32 v11, 8, v1
	v_xor_b32_e32 v6, 16, v1
	;; [unrolled: 1-line block ×3, first 2 shown]
	v_cmp_gt_i32_e32 vcc_lo, 32, v6
	v_cndmask_b32_e32 v6, v1, v6, vcc_lo
	v_cmp_gt_i32_e32 vcc_lo, 32, v11
	v_cndmask_b32_e32 v11, v1, v11, vcc_lo
	s_delay_alu instid0(VALU_DEP_1) | instskip(SKIP_3) | instid1(VALU_DEP_1)
	v_dual_lshlrev_b32 v11, 2, v11 :: v_dual_lshlrev_b32 v10, 2, v6
	ds_bpermute_b32 v6, v10, v7
	s_wait_dscnt 0x0
	v_max_num_f32_e32 v6, v6, v6
	v_max_num_f32_e32 v6, v7, v6
	ds_bpermute_b32 v7, v11, v6
	s_wait_dscnt 0x0
	v_dual_max_num_f32 v7, v7, v7 :: v_dual_bitop2_b32 v12, 4, v1 bitop3:0x14
	s_delay_alu instid0(VALU_DEP_1) | instskip(NEXT) | instid1(VALU_DEP_2)
	v_cmp_gt_i32_e32 vcc_lo, 32, v12
	v_dual_max_num_f32 v6, v6, v7 :: v_dual_cndmask_b32 v12, v1, v12, vcc_lo
	v_cmp_gt_i32_e32 vcc_lo, 32, v13
	s_delay_alu instid0(VALU_DEP_2) | instskip(SKIP_3) | instid1(VALU_DEP_1)
	v_lshlrev_b32_e32 v12, 2, v12
	ds_bpermute_b32 v7, v12, v6
	s_wait_dscnt 0x0
	v_dual_cndmask_b32 v13, v1, v13, vcc_lo :: v_dual_max_num_f32 v7, v7, v7
	v_dual_max_num_f32 v6, v6, v7 :: v_dual_lshlrev_b32 v13, 2, v13
	ds_bpermute_b32 v7, v13, v6
	s_wait_dscnt 0x0
	v_dual_max_num_f32 v7, v7, v7 :: v_dual_bitop2_b32 v14, 1, v1 bitop3:0x14
	s_delay_alu instid0(VALU_DEP_1) | instskip(NEXT) | instid1(VALU_DEP_2)
	v_cmp_gt_i32_e32 vcc_lo, 32, v14
	v_dual_max_num_f32 v6, v6, v7 :: v_dual_cndmask_b32 v1, v1, v14
	s_delay_alu instid0(VALU_DEP_1) | instskip(SKIP_3) | instid1(VALU_DEP_1)
	v_lshlrev_b32_e32 v1, 2, v1
	ds_bpermute_b32 v7, v1, v6
	s_wait_dscnt 0x0
	v_max_num_f32_e32 v7, v7, v7
	v_max_num_f32_e32 v6, v6, v7
	s_delay_alu instid0(VALU_DEP_1) | instskip(NEXT) | instid1(VALU_DEP_1)
	v_sub_f32_e32 v14, v8, v6
	v_mul_f32_e32 v15, 0x3fb8aa3b, v14
	v_sub_f32_e32 v7, v9, v6
	s_delay_alu instid0(VALU_DEP_2) | instskip(SKIP_1) | instid1(VALU_DEP_1)
	v_fma_f32 v18, 0x3fb8aa3b, v14, -v15
	v_rndne_f32_e32 v19, v15
	v_dual_sub_f32 v15, v15, v19 :: v_dual_fmac_f32 v18, 0x32a5705f, v14
	s_delay_alu instid0(VALU_DEP_1) | instskip(NEXT) | instid1(VALU_DEP_1)
	v_dual_mul_f32 v6, 0x3fb8aa3b, v7 :: v_dual_add_f32 v15, v15, v18
	v_fma_f32 v16, 0x3fb8aa3b, v7, -v6
	v_rndne_f32_e32 v17, v6
	s_delay_alu instid0(VALU_DEP_3) | instskip(NEXT) | instid1(VALU_DEP_1)
	v_exp_f32_e32 v15, v15
	v_sub_f32_e32 v6, v6, v17
	s_delay_alu instid0(VALU_DEP_3) | instskip(SKIP_1) | instid1(VALU_DEP_2)
	v_fmac_f32_e32 v16, 0x32a5705f, v7
	v_cmp_ngt_f32_e32 vcc_lo, 0xc2ce8ed0, v7
	v_add_f32_e32 v6, v6, v16
	v_cvt_i32_f32_e32 v16, v17
	v_cvt_i32_f32_e32 v17, v19
	s_delay_alu instid0(VALU_DEP_3) | instskip(NEXT) | instid1(VALU_DEP_1)
	v_exp_f32_e32 v6, v6
	v_ldexp_f32 v15, v15, v17
	s_delay_alu instid0(TRANS32_DEP_1) | instskip(NEXT) | instid1(VALU_DEP_1)
	v_ldexp_f32 v6, v6, v16
	v_cndmask_b32_e32 v6, 0, v6, vcc_lo
	v_cmp_ngt_f32_e32 vcc_lo, 0xc2ce8ed0, v14
	s_delay_alu instid0(VALU_DEP_4) | instskip(SKIP_1) | instid1(VALU_DEP_4)
	v_cndmask_b32_e32 v15, 0, v15, vcc_lo
	v_cmp_nlt_f32_e32 vcc_lo, 0x42b17218, v7
	v_cndmask_b32_e32 v6, 0x7f800000, v6, vcc_lo
	v_cmp_nlt_f32_e32 vcc_lo, 0x42b17218, v14
	s_delay_alu instid0(VALU_DEP_4) | instskip(NEXT) | instid1(VALU_DEP_1)
	v_cndmask_b32_e32 v7, 0x7f800000, v15, vcc_lo
	v_add_f32_e32 v14, v6, v7
	ds_bpermute_b32 v10, v10, v14
	s_wait_dscnt 0x0
	v_add_f32_e32 v10, v14, v10
	ds_bpermute_b32 v11, v11, v10
	s_wait_dscnt 0x0
	;; [unrolled: 3-line block ×5, first 2 shown]
	v_add_f32_e32 v1, v10, v1
	s_delay_alu instid0(VALU_DEP_1) | instskip(NEXT) | instid1(VALU_DEP_1)
	v_div_scale_f32 v10, null, v1, v1, 1.0
	v_rcp_f32_e32 v11, v10
	v_nop
	s_delay_alu instid0(TRANS32_DEP_1) | instskip(NEXT) | instid1(VALU_DEP_1)
	v_fma_f32 v12, -v10, v11, 1.0
	v_fmac_f32_e32 v11, v12, v11
	v_div_scale_f32 v12, vcc_lo, 1.0, v1, 1.0
	s_delay_alu instid0(VALU_DEP_1) | instskip(NEXT) | instid1(VALU_DEP_1)
	v_mul_f32_e32 v13, v12, v11
	v_fma_f32 v14, -v10, v13, v12
	s_delay_alu instid0(VALU_DEP_1) | instskip(NEXT) | instid1(VALU_DEP_1)
	v_fmac_f32_e32 v13, v14, v11
	v_fma_f32 v10, -v10, v13, v12
	s_delay_alu instid0(VALU_DEP_1) | instskip(NEXT) | instid1(VALU_DEP_1)
	v_div_fmas_f32 v10, v10, v11, v13
	v_div_fixup_f32 v10, v10, v1, 1.0
	s_delay_alu instid0(VALU_DEP_1)
	v_pk_mul_f32 v[6:7], v[6:7], v[10:11] op_sel_hi:[1,0]
	s_and_not1_b32 vcc_lo, exec_lo, s1
	s_cbranch_vccz .LBB6_5
	s_branch .LBB6_6
.LBB6_4:
                                        ; implicit-def: $vgpr7
.LBB6_5:
	s_wait_loadcnt 0x0
	v_dual_mul_f32 v1, 0xbfb8aa3b, v9 :: v_dual_mul_f32 v6, 0xbfb8aa3b, v8
	v_cmp_nlt_f32_e32 vcc_lo, 0x42ce8ed0, v9
	s_delay_alu instid0(VALU_DEP_2) | instskip(SKIP_1) | instid1(VALU_DEP_4)
	v_rndne_f32_e32 v7, v1
	v_fma_f32 v10, 0xbfb8aa3b, v9, -v1
	v_rndne_f32_e32 v11, v6
	v_fma_f32 v12, 0xbfb8aa3b, v8, -v6
	s_delay_alu instid0(VALU_DEP_3) | instskip(NEXT) | instid1(VALU_DEP_3)
	v_dual_sub_f32 v1, v1, v7 :: v_dual_fmac_f32 v10, 0xb2a5705f, v9
	v_sub_f32_e32 v6, v6, v11
	v_cvt_i32_f32_e32 v7, v7
	s_delay_alu instid0(VALU_DEP_3) | instskip(SKIP_1) | instid1(VALU_DEP_2)
	v_add_f32_e32 v1, v1, v10
	v_cvt_i32_f32_e32 v10, v11
	v_exp_f32_e32 v1, v1
	v_nop
	s_delay_alu instid0(TRANS32_DEP_1) | instskip(NEXT) | instid1(VALU_DEP_1)
	v_ldexp_f32 v1, v1, v7
	v_dual_fmac_f32 v12, 0xb2a5705f, v8 :: v_dual_cndmask_b32 v1, 0, v1
	s_delay_alu instid0(VALU_DEP_1) | instskip(SKIP_1) | instid1(VALU_DEP_2)
	v_add_f32_e32 v6, v6, v12
	v_cmp_nlt_f32_e32 vcc_lo, 0x42ce8ed0, v8
	v_exp_f32_e32 v6, v6
	v_nop
	s_delay_alu instid0(TRANS32_DEP_1) | instskip(NEXT) | instid1(VALU_DEP_1)
	v_ldexp_f32 v6, v6, v10
	v_cndmask_b32_e32 v7, 0, v6, vcc_lo
	v_cmp_ngt_f32_e32 vcc_lo, 0xc2b17218, v9
	v_cndmask_b32_e32 v6, 0x7f800000, v1, vcc_lo
	v_cmp_ngt_f32_e32 vcc_lo, 0xc2b17218, v8
	s_delay_alu instid0(VALU_DEP_4) | instskip(NEXT) | instid1(VALU_DEP_1)
	v_cndmask_b32_e32 v7, 0x7f800000, v7, vcc_lo
	v_pk_add_f32 v[6:7], v[6:7], 1.0 op_sel_hi:[1,0]
	s_delay_alu instid0(VALU_DEP_1) | instskip(NEXT) | instid1(VALU_DEP_2)
	v_div_scale_f32 v1, null, v6, v6, 1.0
	v_div_scale_f32 v8, null, v7, v7, 1.0
	v_div_scale_f32 v13, vcc_lo, 1.0, v6, 1.0
	s_delay_alu instid0(VALU_DEP_3) | instskip(NEXT) | instid1(VALU_DEP_2)
	v_rcp_f32_e32 v9, v1
	v_rcp_f32_e32 v10, v8
	s_delay_alu instid0(TRANS32_DEP_2) | instskip(NEXT) | instid1(TRANS32_DEP_1)
	v_fma_f32 v11, -v1, v9, 1.0
	v_fma_f32 v12, -v8, v10, 1.0
	s_delay_alu instid0(VALU_DEP_2) | instskip(SKIP_1) | instid1(VALU_DEP_2)
	v_fmac_f32_e32 v9, v11, v9
	v_div_scale_f32 v11, s1, 1.0, v7, 1.0
	v_dual_fmac_f32 v10, v12, v10 :: v_dual_mul_f32 v12, v13, v9
	s_delay_alu instid0(VALU_DEP_1) | instskip(NEXT) | instid1(VALU_DEP_1)
	v_dual_mul_f32 v14, v11, v10 :: v_dual_fma_f32 v15, -v1, v12, v13
	v_dual_fma_f32 v16, -v8, v14, v11 :: v_dual_fmac_f32 v12, v15, v9
	s_delay_alu instid0(VALU_DEP_1) | instskip(NEXT) | instid1(VALU_DEP_1)
	v_dual_fmac_f32 v14, v16, v10 :: v_dual_fma_f32 v1, -v1, v12, v13
	v_fma_f32 v8, -v8, v14, v11
	s_delay_alu instid0(VALU_DEP_2) | instskip(SKIP_1) | instid1(VALU_DEP_2)
	v_div_fmas_f32 v1, v1, v9, v12
	s_mov_b32 vcc_lo, s1
	v_div_fmas_f32 v8, v8, v10, v14
	s_delay_alu instid0(VALU_DEP_2) | instskip(NEXT) | instid1(VALU_DEP_2)
	v_div_fixup_f32 v6, v1, v6, 1.0
	v_div_fixup_f32 v7, v8, v7, 1.0
.LBB6_6:
	s_wait_loadcnt 0x0
	s_delay_alu instid0(VALU_DEP_1)
	v_dual_mov_b32 v9, v6 :: v_dual_mov_b32 v8, v7
.LBB6_7:
	s_lshr_b32 s1, s2, 8
	s_cmp_gt_i32 s13, 0
	s_mov_b32 s2, 0
	s_cbranch_scc1 .LBB6_19
; %bb.8:
	s_bitcmp1_b32 s1, 0
	s_cselect_b32 s3, -1, 0
	v_add_nc_u32_e32 v13, 32, v2
	v_mbcnt_lo_u32_b32 v1, -1, 0
	s_and_not1_b32 vcc_lo, exec_lo, s2
	s_cbranch_vccz .LBB6_20
; %bb.9:
	v_mov_b64_e32 v[4:5], 0
	v_mov_b32_e32 v17, 0
.LBB6_10:
	s_and_b32 vcc_lo, exec_lo, s3
	s_cbranch_vccz .LBB6_12
; %bb.11:
	v_xor_b32_e32 v7, 8, v1
	v_xor_b32_e32 v6, 16, v1
	s_wait_loadcnt 0x0
	v_xor_b32_e32 v8, 4, v1
	s_delay_alu instid0(VALU_DEP_2) | instskip(SKIP_4) | instid1(VALU_DEP_2)
	v_cmp_gt_i32_e32 vcc_lo, 32, v6
	v_cndmask_b32_e32 v6, v1, v6, vcc_lo
	v_cmp_gt_i32_e32 vcc_lo, 32, v7
	v_cndmask_b32_e32 v7, v1, v7, vcc_lo
	v_cmp_gt_i32_e32 vcc_lo, 32, v8
	v_dual_lshlrev_b32 v7, 2, v7 :: v_dual_lshlrev_b32 v6, 2, v6
	ds_bpermute_b32 v6, v6, v17
	s_wait_dscnt 0x0
	v_add_f32_e32 v6, v17, v6
	ds_bpermute_b32 v7, v7, v6
	s_wait_dscnt 0x0
	v_dual_cndmask_b32 v8, v1, v8, vcc_lo :: v_dual_add_f32 v6, v6, v7
	s_delay_alu instid0(VALU_DEP_1) | instskip(SKIP_3) | instid1(VALU_DEP_1)
	v_lshlrev_b32_e32 v8, 2, v8
	ds_bpermute_b32 v7, v8, v6
	s_wait_dscnt 0x0
	v_dual_add_f32 v6, v6, v7 :: v_dual_bitop2_b32 v8, 2, v1 bitop3:0x14
	v_cmp_gt_i32_e32 vcc_lo, 32, v8
	v_cndmask_b32_e32 v8, v1, v8, vcc_lo
	s_delay_alu instid0(VALU_DEP_1) | instskip(SKIP_2) | instid1(VALU_DEP_1)
	v_lshlrev_b32_e32 v8, 2, v8
	ds_bpermute_b32 v7, v8, v6
	v_xor_b32_e32 v8, 1, v1
	v_cmp_gt_i32_e32 vcc_lo, 32, v8
	v_cndmask_b32_e32 v8, v1, v8, vcc_lo
	s_wait_dscnt 0x0
	s_delay_alu instid0(VALU_DEP_1) | instskip(SKIP_4) | instid1(VALU_DEP_1)
	v_dual_lshlrev_b32 v8, 2, v8 :: v_dual_add_f32 v6, v6, v7
	ds_bpermute_b32 v7, v8, v6
	v_max_num_f32_e64 v8, s14, s14
	s_wait_dscnt 0x0
	v_add_f32_e32 v6, v6, v7
	v_max_num_f32_e32 v6, v6, v8
	s_delay_alu instid0(VALU_DEP_1) | instskip(NEXT) | instid1(VALU_DEP_1)
	v_div_scale_f32 v7, null, v6, v6, 1.0
	v_rcp_f32_e32 v8, v7
	v_nop
	s_delay_alu instid0(TRANS32_DEP_1) | instskip(NEXT) | instid1(VALU_DEP_1)
	v_fma_f32 v9, -v7, v8, 1.0
	v_fmac_f32_e32 v8, v9, v8
	v_div_scale_f32 v9, vcc_lo, 1.0, v6, 1.0
	s_wait_xcnt 0x0
	s_delay_alu instid0(VALU_DEP_1) | instskip(NEXT) | instid1(VALU_DEP_1)
	v_mul_f32_e32 v10, v9, v8
	v_fma_f32 v11, -v7, v10, v9
	s_delay_alu instid0(VALU_DEP_1) | instskip(NEXT) | instid1(VALU_DEP_1)
	v_fmac_f32_e32 v10, v11, v8
	v_fma_f32 v7, -v7, v10, v9
	s_delay_alu instid0(VALU_DEP_1) | instskip(NEXT) | instid1(VALU_DEP_1)
	v_div_fmas_f32 v7, v7, v8, v10
	v_div_fixup_f32 v6, v7, v6, 1.0
	s_delay_alu instid0(VALU_DEP_1)
	v_pk_mul_f32 v[4:5], v[6:7], v[4:5] op_sel_hi:[0,1]
.LBB6_12:
	v_cmp_gt_i32_e64 s1, s13, v13
	s_and_not1_b32 vcc_lo, exec_lo, s0
	s_cbranch_vccnz .LBB6_14
; %bb.13:
	v_dual_max_num_f32 v6, v4, v4 :: v_dual_max_num_f32 v7, v5, v5
	s_wait_loadcnt 0x0
	v_xor_b32_e32 v8, 16, v1
	v_xor_b32_e32 v9, 8, v1
	v_cmp_gt_i32_e64 s0, s13, v2
	s_wait_xcnt 0x0
	v_xor_b32_e32 v10, 4, v1
	v_xor_b32_e32 v12, 1, v1
	v_cmp_gt_i32_e32 vcc_lo, 32, v8
	v_cndmask_b32_e32 v8, v1, v8, vcc_lo
	v_cmp_gt_i32_e32 vcc_lo, 32, v9
	v_dual_max_num_f32 v6, 0xff800000, v6 :: v_dual_cndmask_b32 v9, v1, v9
	s_delay_alu instid0(VALU_DEP_1) | instskip(SKIP_1) | instid1(VALU_DEP_2)
	v_cndmask_b32_e64 v6, 0xff800000, v6, s0
	v_cmp_gt_i32_e32 vcc_lo, 32, v10
	v_dual_lshlrev_b32 v9, 2, v9 :: v_dual_max_num_f32 v7, v6, v7
	s_delay_alu instid0(VALU_DEP_1) | instskip(SKIP_4) | instid1(VALU_DEP_1)
	v_dual_cndmask_b32 v10, v1, v10, vcc_lo :: v_dual_cndmask_b32 v6, v6, v7, s1
	v_lshlrev_b32_e32 v8, 2, v8
	ds_bpermute_b32 v7, v8, v6
	s_wait_dscnt 0x0
	v_max_num_f32_e32 v7, v7, v7
	v_max_num_f32_e32 v6, v6, v7
	ds_bpermute_b32 v7, v9, v6
	s_wait_dscnt 0x0
	v_dual_max_num_f32 v7, v7, v7 :: v_dual_lshlrev_b32 v10, 2, v10
	s_delay_alu instid0(VALU_DEP_1) | instskip(SKIP_3) | instid1(VALU_DEP_1)
	v_max_num_f32_e32 v6, v6, v7
	ds_bpermute_b32 v7, v10, v6
	s_wait_dscnt 0x0
	v_dual_max_num_f32 v7, v7, v7 :: v_dual_bitop2_b32 v11, 2, v1 bitop3:0x14
	v_cmp_gt_i32_e32 vcc_lo, 32, v11
	s_delay_alu instid0(VALU_DEP_2) | instskip(SKIP_2) | instid1(VALU_DEP_2)
	v_max_num_f32_e32 v6, v6, v7
	v_cndmask_b32_e32 v11, v1, v11, vcc_lo
	v_cmp_gt_i32_e32 vcc_lo, 32, v12
	v_dual_lshlrev_b32 v11, 2, v11 :: v_dual_cndmask_b32 v1, v1, v12, vcc_lo
	ds_bpermute_b32 v7, v11, v6
	s_wait_dscnt 0x0
	v_dual_max_num_f32 v7, v7, v7 :: v_dual_lshlrev_b32 v1, 2, v1
	s_delay_alu instid0(VALU_DEP_1) | instskip(SKIP_3) | instid1(VALU_DEP_1)
	v_max_num_f32_e32 v6, v6, v7
	ds_bpermute_b32 v7, v1, v6
	s_wait_dscnt 0x0
	v_max_num_f32_e32 v7, v7, v7
	v_max_num_f32_e32 v6, v6, v7
	s_delay_alu instid0(VALU_DEP_1) | instskip(NEXT) | instid1(VALU_DEP_1)
	v_sub_f32_e32 v5, v5, v6
	v_dual_mul_f32 v7, 0x3fb8aa3b, v5 :: v_dual_sub_f32 v4, v4, v6
	s_delay_alu instid0(VALU_DEP_1) | instskip(NEXT) | instid1(VALU_DEP_2)
	v_rndne_f32_e32 v16, v7
	v_mul_f32_e32 v6, 0x3fb8aa3b, v4
	v_fma_f32 v15, 0x3fb8aa3b, v5, -v7
	v_cmp_ngt_f32_e32 vcc_lo, 0xc2ce8ed0, v4
	s_delay_alu instid0(VALU_DEP_4) | instskip(NEXT) | instid1(VALU_DEP_4)
	v_sub_f32_e32 v7, v7, v16
	v_fma_f32 v12, 0x3fb8aa3b, v4, -v6
	v_rndne_f32_e32 v14, v6
	s_delay_alu instid0(VALU_DEP_2) | instskip(NEXT) | instid1(VALU_DEP_1)
	v_dual_fmac_f32 v15, 0x32a5705f, v5 :: v_dual_fmac_f32 v12, 0x32a5705f, v4
	v_dual_sub_f32 v6, v6, v14 :: v_dual_add_f32 v7, v7, v15
	s_delay_alu instid0(VALU_DEP_1) | instskip(SKIP_1) | instid1(VALU_DEP_3)
	v_add_f32_e32 v6, v6, v12
	v_cvt_i32_f32_e32 v12, v14
	v_exp_f32_e32 v7, v7
	v_cvt_i32_f32_e32 v14, v16
	s_delay_alu instid0(VALU_DEP_3)
	v_exp_f32_e32 v6, v6
	s_delay_alu instid0(TRANS32_DEP_2) | instid1(VALU_DEP_1)
	v_ldexp_f32 v7, v7, v14
	s_delay_alu instid0(TRANS32_DEP_1) | instskip(NEXT) | instid1(VALU_DEP_1)
	v_ldexp_f32 v6, v6, v12
	v_cndmask_b32_e32 v6, 0, v6, vcc_lo
	v_cmp_ngt_f32_e32 vcc_lo, 0xc2ce8ed0, v5
	s_delay_alu instid0(VALU_DEP_4) | instskip(SKIP_1) | instid1(VALU_DEP_4)
	v_cndmask_b32_e32 v7, 0, v7, vcc_lo
	v_cmp_nlt_f32_e32 vcc_lo, 0x42b17218, v4
	v_cndmask_b32_e32 v4, 0x7f800000, v6, vcc_lo
	v_cmp_nlt_f32_e32 vcc_lo, 0x42b17218, v5
	s_delay_alu instid0(VALU_DEP_2) | instskip(SKIP_1) | instid1(VALU_DEP_1)
	v_cndmask_b32_e64 v4, 0, v4, s0
	v_cndmask_b32_e32 v5, 0x7f800000, v7, vcc_lo
	v_add_f32_e32 v6, v5, v4
	s_delay_alu instid0(VALU_DEP_1)
	v_cndmask_b32_e64 v6, v4, v6, s1
	ds_bpermute_b32 v7, v8, v6
	s_wait_dscnt 0x0
	v_dual_add_f32 v6, v6, v7 :: v_dual_cndmask_b32 v5, 0, v5, s1
	ds_bpermute_b32 v7, v9, v6
	s_wait_dscnt 0x0
	v_add_f32_e32 v6, v6, v7
	ds_bpermute_b32 v7, v10, v6
	s_wait_dscnt 0x0
	v_add_f32_e32 v6, v6, v7
	;; [unrolled: 3-line block ×4, first 2 shown]
	s_delay_alu instid0(VALU_DEP_1) | instskip(SKIP_1) | instid1(VALU_DEP_2)
	v_div_scale_f32 v6, null, v1, v1, 1.0
	v_div_scale_f32 v9, vcc_lo, 1.0, v1, 1.0
	v_rcp_f32_e32 v7, v6
	v_nop
	s_delay_alu instid0(TRANS32_DEP_1) | instskip(NEXT) | instid1(VALU_DEP_1)
	v_fma_f32 v8, -v6, v7, 1.0
	v_fmac_f32_e32 v7, v8, v7
	s_delay_alu instid0(VALU_DEP_1) | instskip(NEXT) | instid1(VALU_DEP_1)
	v_mul_f32_e32 v8, v9, v7
	v_fma_f32 v10, -v6, v8, v9
	s_delay_alu instid0(VALU_DEP_1) | instskip(NEXT) | instid1(VALU_DEP_1)
	v_fmac_f32_e32 v8, v10, v7
	v_fma_f32 v6, -v6, v8, v9
	s_delay_alu instid0(VALU_DEP_1) | instskip(NEXT) | instid1(VALU_DEP_1)
	v_div_fmas_f32 v6, v6, v7, v8
	v_div_fixup_f32 v1, v6, v1, 1.0
	s_delay_alu instid0(VALU_DEP_1) | instskip(NEXT) | instid1(VALU_DEP_1)
	v_dual_mul_f32 v6, v4, v1 :: v_dual_mul_f32 v1, v5, v1
	v_dual_cndmask_b32 v4, v4, v6, s0 :: v_dual_cndmask_b32 v5, v5, v1, s1
.LBB6_14:
	v_mul_lo_u32 v6, v3, s13
	s_mov_b32 s0, exec_lo
	s_delay_alu instid0(VALU_DEP_1) | instskip(NEXT) | instid1(VALU_DEP_1)
	v_ashrrev_i32_e32 v7, 31, v6
	v_lshl_add_u64 v[6:7], v[6:7], 2, s[6:7]
	s_wait_xcnt 0x0
	v_cmpx_gt_i32_e64 s13, v2
	s_cbranch_execz .LBB6_16
; %bb.15:
	v_mov_b32_e32 v1, 0
	s_delay_alu instid0(VALU_DEP_1)
	v_add_nc_u64_e32 v[2:3], v[6:7], v[0:1]
	v_mul_f32_e32 v1, s15, v4
	global_store_b32 v[2:3], v1, off
.LBB6_16:
	s_wait_xcnt 0x0
	s_or_b32 exec_lo, exec_lo, s0
	v_cmp_gt_i32_e32 vcc_lo, s13, v13
	s_and_b32 exec_lo, exec_lo, vcc_lo
	s_cbranch_execz .LBB6_18
; %bb.17:
	v_dual_mov_b32 v1, 0 :: v_dual_mul_f32 v2, s15, v5
	s_delay_alu instid0(VALU_DEP_1)
	v_add_nc_u64_e32 v[0:1], v[6:7], v[0:1]
	global_store_b32 v[0:1], v2, off offset:128
.LBB6_18:
	s_endpgm
.LBB6_19:
                                        ; implicit-def: $sgpr3
	v_add_nc_u32_e32 v13, 32, v2
	v_mbcnt_lo_u32_b32 v1, -1, 0
.LBB6_20:
	s_clause 0x1
	global_load_b32 v10, v2, s[10:11] scale_offset
	global_load_b32 v11, v2, s[10:11] offset:128 scale_offset
	s_wait_loadcnt 0x3
	v_cmp_o_f32_e32 vcc_lo, v9, v9
	v_xor_b32_e32 v16, 1, v1
	v_xor_b32_e32 v15, 2, v1
	;; [unrolled: 1-line block ×4, first 2 shown]
	v_dual_cndmask_b32 v6, 0xff7fffff, v9 :: v_dual_mov_b32 v17, 0
	s_wait_loadcnt 0x2
	v_cmp_o_f32_e32 vcc_lo, v8, v8
	s_bitcmp1_b32 s1, 0
	s_mov_b32 s4, 0
	s_cselect_b32 s3, -1, 0
	v_cndmask_b32_e32 v7, 0xff7fffff, v8, vcc_lo
	v_lshl_add_u64 v[8:9], v[4:5], 2, s[8:9]
	v_dual_mov_b32 v4, 0 :: v_dual_bitop2_b32 v5, 16, v1 bitop3:0x14
	s_delay_alu instid0(VALU_DEP_1) | instskip(SKIP_4) | instid1(VALU_DEP_2)
	v_cmp_gt_i32_e32 vcc_lo, 32, v5
	v_cndmask_b32_e32 v5, v1, v5, vcc_lo
	v_cmp_gt_i32_e32 vcc_lo, 32, v12
	v_cndmask_b32_e32 v12, v1, v12, vcc_lo
	v_cmp_gt_i32_e32 vcc_lo, 32, v14
	v_dual_cndmask_b32 v14, v1, v14 :: v_dual_lshlrev_b32 v19, 2, v12
	v_cmp_gt_i32_e32 vcc_lo, 32, v15
	s_delay_alu instid0(VALU_DEP_2) | instskip(SKIP_2) | instid1(VALU_DEP_3)
	v_dual_cndmask_b32 v15, v1, v15 :: v_dual_lshlrev_b32 v20, 2, v14
	v_cmp_gt_i32_e32 vcc_lo, 32, v16
	v_dual_mov_b32 v5, 0 :: v_dual_lshlrev_b32 v18, 2, v5
	v_dual_cndmask_b32 v16, v1, v16 :: v_dual_lshlrev_b32 v21, 2, v15
	s_delay_alu instid0(VALU_DEP_1)
	v_lshlrev_b32_e32 v22, 2, v16
	s_wait_loadcnt 0x0
	v_pk_add_f32 v[10:11], v[6:7], v[10:11]
	s_branch .LBB6_22
.LBB6_21:                               ;   in Loop: Header=BB6_22 Depth=1
	s_wait_xcnt 0x0
	s_or_b32 exec_lo, exec_lo, s2
	s_lshr_b32 s1, s4, 5
	s_and_b32 s2, s4, 31
	s_cmp_eq_u32 s1, 0
	v_add_nc_u64_e32 v[8:9], 4, v[8:9]
	s_cselect_b32 vcc_lo, -1, 0
	s_cmp_eq_u32 s1, 1
	v_cndmask_b32_e32 v12, v4, v14, vcc_lo
	s_cselect_b32 vcc_lo, -1, 0
	s_add_co_i32 s4, s4, 1
	v_cndmask_b32_e32 v14, v5, v14, vcc_lo
	v_cmp_eq_u32_e32 vcc_lo, s2, v2
	s_cmp_eq_u32 s13, s4
	s_delay_alu instid0(VALU_DEP_2)
	v_dual_cndmask_b32 v5, v5, v14 :: v_dual_cndmask_b32 v4, v4, v12
	s_cbranch_scc1 .LBB6_10
.LBB6_22:                               ; =>This Inner Loop Header: Depth=1
	s_delay_alu instid0(VALU_DEP_1)
	v_cmp_gt_f32_e32 vcc_lo, v11, v10
	s_mov_b32 s5, exec_lo
	v_cndmask_b32_e32 v23, v10, v11, vcc_lo
	v_cndmask_b32_e32 v24, v2, v13, vcc_lo
	v_cndmask_b32_e32 v12, v6, v7, vcc_lo
	ds_bpermute_b32 v26, v18, v23
	ds_bpermute_b32 v25, v18, v24
	;; [unrolled: 1-line block ×3, first 2 shown]
	s_wait_dscnt 0x2
	v_cmp_lt_f32_e64 s2, v23, v26
	v_cmpx_nlt_f32_e32 v23, v26
	s_cbranch_execz .LBB6_24
; %bb.23:                               ;   in Loop: Header=BB6_22 Depth=1
	v_cmp_eq_f32_e32 vcc_lo, v23, v26
	s_wait_dscnt 0x1
	v_cmp_lt_i32_e64 s1, v25, v24
	s_and_not1_b32 s2, s2, exec_lo
	s_and_b32 s1, vcc_lo, s1
	s_delay_alu instid0(SALU_CYCLE_1) | instskip(NEXT) | instid1(SALU_CYCLE_1)
	s_and_b32 s1, s1, exec_lo
	s_or_b32 s2, s2, s1
.LBB6_24:                               ;   in Loop: Header=BB6_22 Depth=1
	s_or_b32 exec_lo, exec_lo, s5
	v_mov_b64_e32 v[14:15], v[12:13]
	s_and_saveexec_b32 s1, s2
	s_cbranch_execz .LBB6_26
; %bb.25:                               ;   in Loop: Header=BB6_22 Depth=1
	s_wait_dscnt 0x0
	v_mov_b64_e32 v[14:15], v[16:17]
	v_dual_mov_b32 v23, v26 :: v_dual_mov_b32 v12, v16
	v_mov_b32_e32 v24, v25
.LBB6_26:                               ;   in Loop: Header=BB6_22 Depth=1
	s_or_b32 exec_lo, exec_lo, s1
	s_wait_dscnt 0x1
	ds_bpermute_b32 v25, v19, v23
	s_wait_dscnt 0x1
	ds_bpermute_b32 v16, v19, v12
	ds_bpermute_b32 v15, v19, v24
	s_mov_b32 s5, exec_lo
	s_wait_dscnt 0x2
	v_cmp_lt_f32_e64 s2, v23, v25
	v_cmpx_nlt_f32_e32 v23, v25
	s_cbranch_execz .LBB6_28
; %bb.27:                               ;   in Loop: Header=BB6_22 Depth=1
	v_cmp_eq_f32_e32 vcc_lo, v23, v25
	s_wait_dscnt 0x0
	v_cmp_lt_i32_e64 s1, v15, v24
	s_and_not1_b32 s2, s2, exec_lo
	s_and_b32 s1, vcc_lo, s1
	s_delay_alu instid0(SALU_CYCLE_1) | instskip(NEXT) | instid1(SALU_CYCLE_1)
	s_and_b32 s1, s1, exec_lo
	s_or_b32 s2, s2, s1
.LBB6_28:                               ;   in Loop: Header=BB6_22 Depth=1
	s_or_b32 exec_lo, exec_lo, s5
	s_and_saveexec_b32 s1, s2
	s_cbranch_execz .LBB6_30
; %bb.29:                               ;   in Loop: Header=BB6_22 Depth=1
	s_wait_dscnt 0x0
	v_mov_b32_e32 v24, v15
	v_mov_b64_e32 v[14:15], v[16:17]
	v_dual_mov_b32 v23, v25 :: v_dual_mov_b32 v12, v16
.LBB6_30:                               ;   in Loop: Header=BB6_22 Depth=1
	s_or_b32 exec_lo, exec_lo, s1
	ds_bpermute_b32 v25, v20, v23
	s_wait_dscnt 0x2
	ds_bpermute_b32 v16, v20, v12
	s_wait_dscnt 0x2
	ds_bpermute_b32 v15, v20, v24
	s_mov_b32 s5, exec_lo
	s_wait_dscnt 0x2
	v_cmp_lt_f32_e64 s2, v23, v25
	v_cmpx_nlt_f32_e32 v23, v25
	s_cbranch_execz .LBB6_32
; %bb.31:                               ;   in Loop: Header=BB6_22 Depth=1
	v_cmp_eq_f32_e32 vcc_lo, v23, v25
	s_wait_dscnt 0x0
	v_cmp_lt_i32_e64 s1, v15, v24
	s_and_not1_b32 s2, s2, exec_lo
	s_and_b32 s1, vcc_lo, s1
	s_delay_alu instid0(SALU_CYCLE_1) | instskip(NEXT) | instid1(SALU_CYCLE_1)
	s_and_b32 s1, s1, exec_lo
	s_or_b32 s2, s2, s1
.LBB6_32:                               ;   in Loop: Header=BB6_22 Depth=1
	s_or_b32 exec_lo, exec_lo, s5
	s_and_saveexec_b32 s1, s2
	s_cbranch_execz .LBB6_34
; %bb.33:                               ;   in Loop: Header=BB6_22 Depth=1
	s_wait_dscnt 0x0
	v_mov_b32_e32 v24, v15
	v_mov_b64_e32 v[14:15], v[16:17]
	v_dual_mov_b32 v23, v25 :: v_dual_mov_b32 v12, v16
.LBB6_34:                               ;   in Loop: Header=BB6_22 Depth=1
	s_or_b32 exec_lo, exec_lo, s1
	ds_bpermute_b32 v25, v21, v23
	s_wait_dscnt 0x2
	ds_bpermute_b32 v16, v21, v12
	s_wait_dscnt 0x2
	ds_bpermute_b32 v15, v21, v24
	s_mov_b32 s5, exec_lo
	s_wait_dscnt 0x2
	v_cmp_lt_f32_e64 s2, v23, v25
	v_cmpx_nlt_f32_e32 v23, v25
	s_cbranch_execz .LBB6_36
; %bb.35:                               ;   in Loop: Header=BB6_22 Depth=1
	v_cmp_eq_f32_e32 vcc_lo, v23, v25
	s_wait_dscnt 0x0
	v_cmp_lt_i32_e64 s1, v15, v24
	s_and_not1_b32 s2, s2, exec_lo
	s_and_b32 s1, vcc_lo, s1
	s_delay_alu instid0(SALU_CYCLE_1) | instskip(NEXT) | instid1(SALU_CYCLE_1)
	s_and_b32 s1, s1, exec_lo
	s_or_b32 s2, s2, s1
.LBB6_36:                               ;   in Loop: Header=BB6_22 Depth=1
	s_or_b32 exec_lo, exec_lo, s5
	s_and_saveexec_b32 s1, s2
	s_cbranch_execz .LBB6_38
; %bb.37:                               ;   in Loop: Header=BB6_22 Depth=1
	s_wait_dscnt 0x0
	v_mov_b32_e32 v24, v15
	v_mov_b64_e32 v[14:15], v[16:17]
	v_dual_mov_b32 v23, v25 :: v_dual_mov_b32 v12, v16
.LBB6_38:                               ;   in Loop: Header=BB6_22 Depth=1
	s_or_b32 exec_lo, exec_lo, s1
	s_wait_dscnt 0x0
	ds_bpermute_b32 v15, v22, v23
	ds_bpermute_b32 v16, v22, v24
	s_wait_dscnt 0x1
	v_cmp_eq_f32_e32 vcc_lo, v23, v15
	s_wait_dscnt 0x0
	v_cmp_lt_i32_e64 s1, v16, v24
	v_cmp_lt_f32_e64 s2, v23, v15
	ds_bpermute_b32 v15, v22, v12
	s_and_b32 s1, vcc_lo, s1
	s_delay_alu instid0(SALU_CYCLE_1) | instskip(SKIP_1) | instid1(VALU_DEP_1)
	s_or_b32 vcc_lo, s2, s1
	v_cndmask_b32_e32 v12, v24, v16, vcc_lo
	v_and_b32_e32 v16, 31, v12
	s_delay_alu instid0(VALU_DEP_1)
	v_cmp_eq_u32_e64 s1, v16, v2
	s_and_saveexec_b32 s5, s1
	s_cbranch_execz .LBB6_40
; %bb.39:                               ;   in Loop: Header=BB6_22 Depth=1
	v_ashrrev_i32_e32 v16, 31, v12
	s_delay_alu instid0(VALU_DEP_1) | instskip(NEXT) | instid1(VALU_DEP_1)
	v_lshrrev_b32_e32 v16, 27, v16
	v_add_nc_u32_e32 v16, v12, v16
	s_delay_alu instid0(VALU_DEP_1) | instskip(NEXT) | instid1(VALU_DEP_1)
	v_ashrrev_i32_e32 v16, 5, v16
	v_cmp_ne_u32_e64 s2, 1, v16
	s_delay_alu instid0(VALU_DEP_1) | instskip(SKIP_1) | instid1(VALU_DEP_1)
	v_cndmask_b32_e64 v11, 0xff800000, v11, s2
	v_cmp_ne_u32_e64 s2, 0, v16
	v_cndmask_b32_e64 v10, 0xff800000, v10, s2
.LBB6_40:                               ;   in Loop: Header=BB6_22 Depth=1
	s_or_b32 exec_lo, exec_lo, s5
	s_wait_dscnt 0x0
	v_cndmask_b32_e32 v14, v14, v15, vcc_lo
	s_and_saveexec_b32 s2, s1
	s_cbranch_execz .LBB6_21
; %bb.41:                               ;   in Loop: Header=BB6_22 Depth=1
	s_delay_alu instid0(VALU_DEP_1)
	v_add_f32_e32 v15, v17, v14
	global_store_b32 v[8:9], v12, off
	v_cndmask_b32_e64 v17, v17, v15, s3
	s_branch .LBB6_21
	.section	.rodata,"a",@progbits
	.p2align	6, 0x0
	.amdhsa_kernel _Z13topk_moe_cudaILi64ELb1EEvPKfPfPiS2_iiff15topk_moe_config
		.amdhsa_group_segment_fixed_size 0
		.amdhsa_private_segment_fixed_size 0
		.amdhsa_kernarg_size 312
		.amdhsa_user_sgpr_count 2
		.amdhsa_user_sgpr_dispatch_ptr 0
		.amdhsa_user_sgpr_queue_ptr 0
		.amdhsa_user_sgpr_kernarg_segment_ptr 1
		.amdhsa_user_sgpr_dispatch_id 0
		.amdhsa_user_sgpr_kernarg_preload_length 0
		.amdhsa_user_sgpr_kernarg_preload_offset 0
		.amdhsa_user_sgpr_private_segment_size 0
		.amdhsa_wavefront_size32 1
		.amdhsa_uses_dynamic_stack 0
		.amdhsa_enable_private_segment 0
		.amdhsa_system_sgpr_workgroup_id_x 1
		.amdhsa_system_sgpr_workgroup_id_y 0
		.amdhsa_system_sgpr_workgroup_id_z 0
		.amdhsa_system_sgpr_workgroup_info 0
		.amdhsa_system_vgpr_workitem_id 1
		.amdhsa_next_free_vgpr 27
		.amdhsa_next_free_sgpr 16
		.amdhsa_named_barrier_count 0
		.amdhsa_reserve_vcc 1
		.amdhsa_float_round_mode_32 0
		.amdhsa_float_round_mode_16_64 0
		.amdhsa_float_denorm_mode_32 3
		.amdhsa_float_denorm_mode_16_64 3
		.amdhsa_fp16_overflow 0
		.amdhsa_memory_ordered 1
		.amdhsa_forward_progress 1
		.amdhsa_inst_pref_size 29
		.amdhsa_round_robin_scheduling 0
		.amdhsa_exception_fp_ieee_invalid_op 0
		.amdhsa_exception_fp_denorm_src 0
		.amdhsa_exception_fp_ieee_div_zero 0
		.amdhsa_exception_fp_ieee_overflow 0
		.amdhsa_exception_fp_ieee_underflow 0
		.amdhsa_exception_fp_ieee_inexact 0
		.amdhsa_exception_int_div_zero 0
	.end_amdhsa_kernel
	.section	.text._Z13topk_moe_cudaILi64ELb1EEvPKfPfPiS2_iiff15topk_moe_config,"axG",@progbits,_Z13topk_moe_cudaILi64ELb1EEvPKfPfPiS2_iiff15topk_moe_config,comdat
.Lfunc_end6:
	.size	_Z13topk_moe_cudaILi64ELb1EEvPKfPfPiS2_iiff15topk_moe_config, .Lfunc_end6-_Z13topk_moe_cudaILi64ELb1EEvPKfPfPiS2_iiff15topk_moe_config
                                        ; -- End function
	.set _Z13topk_moe_cudaILi64ELb1EEvPKfPfPiS2_iiff15topk_moe_config.num_vgpr, 27
	.set _Z13topk_moe_cudaILi64ELb1EEvPKfPfPiS2_iiff15topk_moe_config.num_agpr, 0
	.set _Z13topk_moe_cudaILi64ELb1EEvPKfPfPiS2_iiff15topk_moe_config.numbered_sgpr, 16
	.set _Z13topk_moe_cudaILi64ELb1EEvPKfPfPiS2_iiff15topk_moe_config.num_named_barrier, 0
	.set _Z13topk_moe_cudaILi64ELb1EEvPKfPfPiS2_iiff15topk_moe_config.private_seg_size, 0
	.set _Z13topk_moe_cudaILi64ELb1EEvPKfPfPiS2_iiff15topk_moe_config.uses_vcc, 1
	.set _Z13topk_moe_cudaILi64ELb1EEvPKfPfPiS2_iiff15topk_moe_config.uses_flat_scratch, 0
	.set _Z13topk_moe_cudaILi64ELb1EEvPKfPfPiS2_iiff15topk_moe_config.has_dyn_sized_stack, 0
	.set _Z13topk_moe_cudaILi64ELb1EEvPKfPfPiS2_iiff15topk_moe_config.has_recursion, 0
	.set _Z13topk_moe_cudaILi64ELb1EEvPKfPfPiS2_iiff15topk_moe_config.has_indirect_call, 0
	.section	.AMDGPU.csdata,"",@progbits
; Kernel info:
; codeLenInByte = 3624
; TotalNumSgprs: 18
; NumVgprs: 27
; ScratchSize: 0
; MemoryBound: 0
; FloatMode: 240
; IeeeMode: 1
; LDSByteSize: 0 bytes/workgroup (compile time only)
; SGPRBlocks: 0
; VGPRBlocks: 1
; NumSGPRsForWavesPerEU: 18
; NumVGPRsForWavesPerEU: 27
; NamedBarCnt: 0
; Occupancy: 16
; WaveLimiterHint : 1
; COMPUTE_PGM_RSRC2:SCRATCH_EN: 0
; COMPUTE_PGM_RSRC2:USER_SGPR: 2
; COMPUTE_PGM_RSRC2:TRAP_HANDLER: 0
; COMPUTE_PGM_RSRC2:TGID_X_EN: 1
; COMPUTE_PGM_RSRC2:TGID_Y_EN: 0
; COMPUTE_PGM_RSRC2:TGID_Z_EN: 0
; COMPUTE_PGM_RSRC2:TIDIG_COMP_CNT: 1
	.section	.text._Z13topk_moe_cudaILi128ELb1EEvPKfPfPiS2_iiff15topk_moe_config,"axG",@progbits,_Z13topk_moe_cudaILi128ELb1EEvPKfPfPiS2_iiff15topk_moe_config,comdat
	.protected	_Z13topk_moe_cudaILi128ELb1EEvPKfPfPiS2_iiff15topk_moe_config ; -- Begin function _Z13topk_moe_cudaILi128ELb1EEvPKfPfPiS2_iiff15topk_moe_config
	.globl	_Z13topk_moe_cudaILi128ELb1EEvPKfPfPiS2_iiff15topk_moe_config
	.p2align	8
	.type	_Z13topk_moe_cudaILi128ELb1EEvPKfPfPiS2_iiff15topk_moe_config,@function
_Z13topk_moe_cudaILi128ELb1EEvPKfPfPiS2_iiff15topk_moe_config: ; @_Z13topk_moe_cudaILi128ELb1EEvPKfPfPiS2_iiff15topk_moe_config
; %bb.0:
	s_clause 0x1
	s_load_u16 s2, s[0:1], 0x46
	s_load_b128 s[12:15], s[0:1], 0x20
	s_bfe_u32 s3, ttmp6, 0x4000c
	s_and_b32 s4, ttmp6, 15
	s_add_co_i32 s3, s3, 1
	v_bfe_u32 v1, v0, 10, 10
	s_mul_i32 s3, ttmp9, s3
	s_delay_alu instid0(SALU_CYCLE_1) | instskip(SKIP_1) | instid1(SALU_CYCLE_1)
	s_add_co_i32 s4, s4, s3
	s_getreg_b32 s3, hwreg(HW_REG_IB_STS2, 6, 4)
	s_cmp_eq_u32 s3, 0
	s_cselect_b32 s3, ttmp9, s4
	s_wait_kmcnt 0x0
	v_mad_u32 v18, s3, s2, v1
	s_mov_b32 s2, exec_lo
	s_delay_alu instid0(VALU_DEP_1)
	v_cmpx_gt_i32_e64 s12, v18
	s_cbranch_execz .LBB7_47
; %bb.1:
	s_load_b256 s[4:11], s[0:1], 0x0
	v_dual_mov_b32 v9, 0 :: v_dual_lshlrev_b32 v2, 7, v18
	v_and_b32_e32 v19, 0x3ff, v0
	s_delay_alu instid0(VALU_DEP_2) | instskip(SKIP_4) | instid1(VALU_DEP_1)
	v_ashrrev_i32_e32 v3, 31, v2
	global_load_u8 v12, v9, s[0:1] offset:50
	v_lshlrev_b32_e32 v8, 2, v19
	s_wait_kmcnt 0x0
	v_lshl_add_u64 v[0:1], v[2:3], 2, s[4:5]
	v_add_nc_u64_e32 v[4:5], v[0:1], v[8:9]
	global_load_u16 v0, v9, s[0:1] offset:48
	s_clause 0x3
	global_load_b32 v6, v[4:5], off
	global_load_b32 v7, v[4:5], off offset:128
	global_load_b32 v10, v[4:5], off offset:256
	global_load_b32 v11, v[4:5], off offset:384
	s_wait_loadcnt 0x5
	v_and_b32_e32 v1, 1, v12
	s_wait_xcnt 0x4
	s_delay_alu instid0(VALU_DEP_1)
	v_cmp_eq_u32_e64 s0, 1, v1
	s_and_b32 vcc_lo, exec_lo, s0
	s_wait_loadcnt 0x4
	v_readfirstlane_b32 s1, v0
	s_and_b32 s4, 0xffff, s1
	s_cbranch_vccnz .LBB7_7
; %bb.2:
	v_and_b32_e32 v0, 1, v0
	s_mov_b32 s1, 0
	s_delay_alu instid0(VALU_DEP_1)
	v_cmp_eq_u32_e32 vcc_lo, 0, v0
	s_cbranch_vccz .LBB7_4
; %bb.3:
	v_mbcnt_lo_u32_b32 v0, -1, 0
	s_wait_loadcnt 0x2
	s_wait_xcnt 0x0
	v_max3_num_f32 v4, v6, 0xff800000, v7
	s_wait_loadcnt 0x0
	s_delay_alu instid0(VALU_DEP_1) | instskip(SKIP_2) | instid1(VALU_DEP_1)
	v_max3_num_f32 v4, v4, v10, v11
	v_xor_b32_e32 v5, 8, v0
	v_xor_b32_e32 v1, 16, v0
	v_cmp_gt_i32_e32 vcc_lo, 32, v1
	v_cndmask_b32_e32 v1, v0, v1, vcc_lo
	s_delay_alu instid0(VALU_DEP_4) | instskip(SKIP_1) | instid1(VALU_DEP_1)
	v_cmp_gt_i32_e32 vcc_lo, 32, v5
	v_cndmask_b32_e32 v5, v0, v5, vcc_lo
	v_dual_lshlrev_b32 v12, 2, v5 :: v_dual_bitop2_b32 v5, 4, v0 bitop3:0x14
	s_delay_alu instid0(VALU_DEP_4) | instskip(NEXT) | instid1(VALU_DEP_2)
	v_lshlrev_b32_e32 v9, 2, v1
	v_cmp_gt_i32_e32 vcc_lo, 32, v5
	ds_bpermute_b32 v1, v9, v4
	v_cndmask_b32_e32 v5, v0, v5, vcc_lo
	s_delay_alu instid0(VALU_DEP_1) | instskip(NEXT) | instid1(VALU_DEP_1)
	v_dual_lshlrev_b32 v13, 2, v5 :: v_dual_bitop2_b32 v5, 2, v0 bitop3:0x14
	v_cmp_gt_i32_e32 vcc_lo, 32, v5
	s_wait_dscnt 0x0
	v_max_num_f32_e32 v1, v1, v1
	v_cndmask_b32_e32 v5, v0, v5, vcc_lo
	s_delay_alu instid0(VALU_DEP_2) | instskip(NEXT) | instid1(VALU_DEP_2)
	v_max_num_f32_e32 v1, v4, v1
	v_dual_lshlrev_b32 v14, 2, v5 :: v_dual_bitop2_b32 v5, 1, v0 bitop3:0x14
	ds_bpermute_b32 v4, v12, v1
	v_cmp_gt_i32_e32 vcc_lo, 32, v5
	v_cndmask_b32_e32 v0, v0, v5, vcc_lo
	s_delay_alu instid0(VALU_DEP_1) | instskip(SKIP_2) | instid1(VALU_DEP_1)
	v_lshlrev_b32_e32 v15, 2, v0
	s_wait_dscnt 0x0
	v_max_num_f32_e32 v4, v4, v4
	v_max_num_f32_e32 v1, v1, v4
	ds_bpermute_b32 v4, v13, v1
	s_wait_dscnt 0x0
	v_max_num_f32_e32 v4, v4, v4
	s_delay_alu instid0(VALU_DEP_1) | instskip(SKIP_3) | instid1(VALU_DEP_1)
	v_max_num_f32_e32 v1, v1, v4
	ds_bpermute_b32 v4, v14, v1
	s_wait_dscnt 0x0
	v_max_num_f32_e32 v4, v4, v4
	v_max_num_f32_e32 v0, v1, v4
	ds_bpermute_b32 v1, v15, v0
	s_wait_dscnt 0x0
	v_max_num_f32_e32 v1, v1, v1
	s_delay_alu instid0(VALU_DEP_1) | instskip(NEXT) | instid1(VALU_DEP_1)
	v_max_num_f32_e32 v0, v0, v1
	v_sub_f32_e32 v17, v11, v0
	s_delay_alu instid0(VALU_DEP_1) | instskip(NEXT) | instid1(VALU_DEP_1)
	v_mul_f32_e32 v21, 0x3fb8aa3b, v17
	v_fma_f32 v28, 0x3fb8aa3b, v17, -v21
	v_rndne_f32_e32 v29, v21
	s_delay_alu instid0(VALU_DEP_2) | instskip(NEXT) | instid1(VALU_DEP_2)
	v_fmac_f32_e32 v28, 0x32a5705f, v17
	v_sub_f32_e32 v21, v21, v29
	s_delay_alu instid0(VALU_DEP_1) | instskip(SKIP_2) | instid1(VALU_DEP_3)
	v_add_f32_e32 v21, v21, v28
	v_dual_sub_f32 v1, v6, v0 :: v_dual_sub_f32 v5, v7, v0
	v_sub_f32_e32 v16, v10, v0
	v_exp_f32_e32 v21, v21
	s_delay_alu instid0(VALU_DEP_2) | instskip(NEXT) | instid1(VALU_DEP_3)
	v_mul_f32_e32 v0, 0x3fb8aa3b, v1
	v_mul_f32_e32 v4, 0x3fb8aa3b, v5
	v_cmp_ngt_f32_e32 vcc_lo, 0xc2ce8ed0, v1
	s_delay_alu instid0(VALU_DEP_3) | instskip(SKIP_1) | instid1(VALU_DEP_4)
	v_fma_f32 v22, 0x3fb8aa3b, v1, -v0
	v_rndne_f32_e32 v23, v0
	v_rndne_f32_e32 v25, v4
	v_fma_f32 v24, 0x3fb8aa3b, v5, -v4
	s_delay_alu instid0(VALU_DEP_4) | instskip(NEXT) | instid1(VALU_DEP_4)
	v_fmac_f32_e32 v22, 0x32a5705f, v1
	v_sub_f32_e32 v0, v0, v23
	s_delay_alu instid0(VALU_DEP_4) | instskip(NEXT) | instid1(VALU_DEP_4)
	v_sub_f32_e32 v4, v4, v25
	v_fmac_f32_e32 v24, 0x32a5705f, v5
	v_cvt_i32_f32_e32 v23, v23
	s_delay_alu instid0(VALU_DEP_4) | instskip(SKIP_3) | instid1(VALU_DEP_4)
	v_add_f32_e32 v0, v0, v22
	v_cvt_i32_f32_e32 v22, v25
	v_cvt_i32_f32_e32 v25, v29
	v_add_f32_e32 v4, v4, v24
	v_exp_f32_e32 v0, v0
	s_delay_alu instid0(VALU_DEP_2) | instskip(SKIP_1) | instid1(VALU_DEP_3)
	v_ldexp_f32 v21, v21, v25
	v_mul_f32_e32 v20, 0x3fb8aa3b, v16
	v_exp_f32_e32 v4, v4
	s_delay_alu instid0(TRANS32_DEP_2) | instskip(NEXT) | instid1(VALU_DEP_2)
	v_ldexp_f32 v0, v0, v23
	v_fma_f32 v26, 0x3fb8aa3b, v16, -v20
	v_rndne_f32_e32 v27, v20
	s_delay_alu instid0(TRANS32_DEP_1) | instskip(NEXT) | instid1(VALU_DEP_4)
	v_ldexp_f32 v4, v4, v22
	v_cndmask_b32_e32 v0, 0, v0, vcc_lo
	s_delay_alu instid0(VALU_DEP_4) | instskip(NEXT) | instid1(VALU_DEP_4)
	v_fmac_f32_e32 v26, 0x32a5705f, v16
	v_sub_f32_e32 v20, v20, v27
	v_cmp_ngt_f32_e32 vcc_lo, 0xc2ce8ed0, v5
	v_cvt_i32_f32_e32 v24, v27
	s_delay_alu instid0(VALU_DEP_3) | instskip(SKIP_1) | instid1(VALU_DEP_2)
	v_dual_add_f32 v20, v20, v26 :: v_dual_cndmask_b32 v22, 0, v4, vcc_lo
	v_cmp_ngt_f32_e32 vcc_lo, 0xc2ce8ed0, v16
	v_exp_f32_e32 v20, v20
	v_nop
	s_delay_alu instid0(TRANS32_DEP_1) | instskip(NEXT) | instid1(VALU_DEP_1)
	v_ldexp_f32 v20, v20, v24
	v_cndmask_b32_e32 v20, 0, v20, vcc_lo
	v_cmp_nlt_f32_e32 vcc_lo, 0x42b17218, v1
	v_cndmask_b32_e32 v4, 0x7f800000, v0, vcc_lo
	v_cmp_nlt_f32_e32 vcc_lo, 0x42b17218, v5
	v_cndmask_b32_e32 v5, 0x7f800000, v22, vcc_lo
	v_cmp_ngt_f32_e32 vcc_lo, 0xc2ce8ed0, v17
	v_cndmask_b32_e32 v1, 0, v21, vcc_lo
	v_cmp_nlt_f32_e32 vcc_lo, 0x42b17218, v16
	s_delay_alu instid0(VALU_DEP_4) | instskip(SKIP_2) | instid1(VALU_DEP_2)
	v_add_f32_e32 v16, v4, v5
	v_cndmask_b32_e32 v0, 0x7f800000, v20, vcc_lo
	v_cmp_nlt_f32_e32 vcc_lo, 0x42b17218, v17
	v_dual_add_f32 v16, v0, v16 :: v_dual_cndmask_b32 v1, 0x7f800000, v1
	s_delay_alu instid0(VALU_DEP_1)
	v_add_f32_e32 v16, v1, v16
	ds_bpermute_b32 v9, v9, v16
	s_wait_dscnt 0x0
	v_add_f32_e32 v9, v16, v9
	ds_bpermute_b32 v12, v12, v9
	s_wait_dscnt 0x0
	;; [unrolled: 3-line block ×5, first 2 shown]
	v_add_f32_e32 v9, v9, v12
	s_delay_alu instid0(VALU_DEP_1) | instskip(SKIP_1) | instid1(VALU_DEP_2)
	v_div_scale_f32 v12, null, v9, v9, 1.0
	v_div_scale_f32 v15, vcc_lo, 1.0, v9, 1.0
	v_rcp_f32_e32 v13, v12
	v_nop
	s_delay_alu instid0(TRANS32_DEP_1) | instskip(NEXT) | instid1(VALU_DEP_1)
	v_fma_f32 v14, -v12, v13, 1.0
	v_fmac_f32_e32 v13, v14, v13
	s_delay_alu instid0(VALU_DEP_1) | instskip(NEXT) | instid1(VALU_DEP_1)
	v_mul_f32_e32 v14, v15, v13
	v_fma_f32 v16, -v12, v14, v15
	s_delay_alu instid0(VALU_DEP_1) | instskip(NEXT) | instid1(VALU_DEP_1)
	v_fmac_f32_e32 v14, v16, v13
	v_fma_f32 v12, -v12, v14, v15
	s_delay_alu instid0(VALU_DEP_1) | instskip(NEXT) | instid1(VALU_DEP_1)
	v_div_fmas_f32 v12, v12, v13, v14
	v_div_fixup_f32 v12, v12, v9, 1.0
	s_delay_alu instid0(VALU_DEP_1)
	v_pk_mul_f32 v[0:1], v[0:1], v[12:13] op_sel_hi:[1,0]
	v_pk_mul_f32 v[4:5], v[4:5], v[12:13] op_sel_hi:[1,0]
	s_and_not1_b32 vcc_lo, exec_lo, s1
	s_cbranch_vccz .LBB7_5
	s_branch .LBB7_6
.LBB7_4:
                                        ; implicit-def: $vgpr1
                                        ; implicit-def: $vgpr5
.LBB7_5:
	s_wait_loadcnt 0x2
	v_dual_mul_f32 v0, 0xbfb8aa3b, v6 :: v_dual_mul_f32 v1, 0xbfb8aa3b, v7
	s_wait_loadcnt 0x0
	v_dual_mul_f32 v4, 0xbfb8aa3b, v10 :: v_dual_mul_f32 v5, 0xbfb8aa3b, v11
	v_cmp_nlt_f32_e32 vcc_lo, 0x42ce8ed0, v6
	s_delay_alu instid0(VALU_DEP_3)
	v_rndne_f32_e32 v9, v0
	v_fma_f32 v12, 0xbfb8aa3b, v6, -v0
	v_rndne_f32_e32 v13, v1
	v_fma_f32 v14, 0xbfb8aa3b, v7, -v1
	v_rndne_f32_e32 v17, v5
	v_rndne_f32_e32 v15, v4
	s_delay_alu instid0(VALU_DEP_4) | instskip(NEXT) | instid1(VALU_DEP_4)
	v_dual_fmac_f32 v12, 0xb2a5705f, v6 :: v_dual_sub_f32 v1, v1, v13
	v_fmac_f32_e32 v14, 0xb2a5705f, v7
	v_sub_f32_e32 v0, v0, v9
	v_cvt_i32_f32_e32 v9, v9
	v_cvt_i32_f32_e32 v13, v13
	v_fma_f32 v16, 0xbfb8aa3b, v10, -v4
	s_delay_alu instid0(VALU_DEP_4) | instskip(SKIP_2) | instid1(VALU_DEP_3)
	v_dual_add_f32 v1, v1, v14 :: v_dual_add_f32 v0, v0, v12
	v_fma_f32 v12, 0xbfb8aa3b, v11, -v5
	v_sub_f32_e32 v5, v5, v17
	v_exp_f32_e32 v1, v1
	s_delay_alu instid0(VALU_DEP_2) | instskip(NEXT) | instid1(VALU_DEP_1)
	v_fmac_f32_e32 v12, 0xb2a5705f, v11
	v_add_f32_e32 v5, v5, v12
	v_exp_f32_e32 v0, v0
	s_delay_alu instid0(TRANS32_DEP_2) | instskip(NEXT) | instid1(VALU_DEP_2)
	v_ldexp_f32 v1, v1, v13
	v_exp_f32_e32 v5, v5
	s_delay_alu instid0(TRANS32_DEP_2) | instskip(SKIP_2) | instid1(VALU_DEP_3)
	v_ldexp_f32 v0, v0, v9
	v_sub_f32_e32 v4, v4, v15
	v_cvt_i32_f32_e32 v9, v15
	v_cndmask_b32_e32 v0, 0, v0, vcc_lo
	v_cmp_nlt_f32_e32 vcc_lo, 0x42ce8ed0, v7
	v_dual_fmac_f32 v16, 0xb2a5705f, v10 :: v_dual_cndmask_b32 v1, 0, v1
	v_cmp_ngt_f32_e32 vcc_lo, 0xc2b17218, v6
	v_cvt_i32_f32_e32 v6, v17
	v_cndmask_b32_e32 v0, 0x7f800000, v0, vcc_lo
	v_cmp_ngt_f32_e32 vcc_lo, 0xc2b17218, v7
	v_add_f32_e32 v4, v4, v16
	s_delay_alu instid0(VALU_DEP_4) | instskip(SKIP_1) | instid1(VALU_DEP_3)
	v_ldexp_f32 v5, v5, v6
	v_cndmask_b32_e32 v1, 0x7f800000, v1, vcc_lo
	v_exp_f32_e32 v4, v4
	v_cmp_nlt_f32_e32 vcc_lo, 0x42ce8ed0, v10
	s_delay_alu instid0(TRANS32_DEP_1) | instskip(NEXT) | instid1(VALU_DEP_1)
	v_ldexp_f32 v4, v4, v9
	v_cndmask_b32_e32 v4, 0, v4, vcc_lo
	v_cmp_nlt_f32_e32 vcc_lo, 0x42ce8ed0, v11
	v_cndmask_b32_e32 v5, 0, v5, vcc_lo
	v_cmp_ngt_f32_e32 vcc_lo, 0xc2b17218, v10
	s_delay_alu instid0(VALU_DEP_4) | instskip(SKIP_1) | instid1(VALU_DEP_4)
	v_cndmask_b32_e32 v4, 0x7f800000, v4, vcc_lo
	v_cmp_ngt_f32_e32 vcc_lo, 0xc2b17218, v11
	v_cndmask_b32_e32 v5, 0x7f800000, v5, vcc_lo
	s_delay_alu instid0(VALU_DEP_1) | instskip(NEXT) | instid1(VALU_DEP_1)
	v_pk_add_f32 v[6:7], v[4:5], 1.0 op_sel_hi:[1,0]
	v_div_scale_f32 v5, null, v6, v6, 1.0
	s_delay_alu instid0(VALU_DEP_2) | instskip(NEXT) | instid1(VALU_DEP_2)
	v_div_scale_f32 v14, null, v7, v7, 1.0
	v_rcp_f32_e32 v13, v5
	s_delay_alu instid0(VALU_DEP_1) | instskip(NEXT) | instid1(TRANS32_DEP_2)
	v_rcp_f32_e32 v20, v14
	v_fma_f32 v17, -v5, v13, 1.0
	s_delay_alu instid0(TRANS32_DEP_1) | instskip(NEXT) | instid1(VALU_DEP_2)
	v_fma_f32 v21, -v14, v20, 1.0
	v_fmac_f32_e32 v13, v17, v13
	v_pk_add_f32 v[0:1], v[0:1], 1.0 op_sel_hi:[1,0]
	v_div_scale_f32 v17, s2, 1.0, v6, 1.0
	s_delay_alu instid0(VALU_DEP_2) | instskip(NEXT) | instid1(VALU_DEP_3)
	v_div_scale_f32 v9, null, v0, v0, 1.0
	v_div_scale_f32 v4, null, v1, v1, 1.0
	s_delay_alu instid0(VALU_DEP_3) | instskip(NEXT) | instid1(VALU_DEP_3)
	v_mul_f32_e32 v24, v17, v13
	v_rcp_f32_e32 v10, v9
	s_delay_alu instid0(VALU_DEP_2) | instskip(NEXT) | instid1(TRANS32_DEP_2)
	v_rcp_f32_e32 v12, v4
	v_fma_f32 v11, -v9, v10, 1.0
	s_delay_alu instid0(TRANS32_DEP_1) | instskip(NEXT) | instid1(VALU_DEP_2)
	v_fma_f32 v15, -v4, v12, 1.0
	v_fmac_f32_e32 v10, v11, v10
	v_div_scale_f32 v11, vcc_lo, 1.0, v0, 1.0
	s_delay_alu instid0(VALU_DEP_3) | instskip(SKIP_1) | instid1(VALU_DEP_3)
	v_fmac_f32_e32 v12, v15, v12
	v_div_scale_f32 v15, s1, 1.0, v1, 1.0
	v_mul_f32_e32 v16, v11, v10
	s_delay_alu instid0(VALU_DEP_1) | instskip(NEXT) | instid1(VALU_DEP_3)
	v_fma_f32 v22, -v9, v16, v11
	v_mul_f32_e32 v23, v15, v12
	v_fmac_f32_e32 v20, v21, v20
	v_div_scale_f32 v21, s3, 1.0, v7, 1.0
	s_delay_alu instid0(VALU_DEP_3) | instskip(NEXT) | instid1(VALU_DEP_2)
	v_dual_fmac_f32 v16, v22, v10 :: v_dual_fma_f32 v22, -v4, v23, v15
	v_mul_f32_e32 v26, v21, v20
	s_delay_alu instid0(VALU_DEP_2) | instskip(NEXT) | instid1(VALU_DEP_3)
	v_fma_f32 v9, -v9, v16, v11
	v_fmac_f32_e32 v23, v22, v12
	v_fma_f32 v25, -v5, v24, v17
	s_delay_alu instid0(VALU_DEP_4) | instskip(NEXT) | instid1(VALU_DEP_4)
	v_fma_f32 v11, -v14, v26, v21
	v_div_fmas_f32 v9, v9, v10, v16
	s_delay_alu instid0(VALU_DEP_3) | instskip(NEXT) | instid1(VALU_DEP_3)
	v_dual_fma_f32 v4, -v4, v23, v15 :: v_dual_fmac_f32 v24, v25, v13
	v_fmac_f32_e32 v26, v11, v20
	s_mov_b32 vcc_lo, s1
	s_delay_alu instid0(VALU_DEP_2) | instskip(NEXT) | instid1(VALU_DEP_3)
	v_div_fmas_f32 v10, v4, v12, v23
	v_fma_f32 v5, -v5, v24, v17
	s_delay_alu instid0(VALU_DEP_3) | instskip(SKIP_1) | instid1(VALU_DEP_2)
	v_fma_f32 v4, -v14, v26, v21
	s_mov_b32 vcc_lo, s2
	v_div_fmas_f32 v11, v5, v13, v24
	s_mov_b32 vcc_lo, s3
	v_div_fixup_f32 v5, v10, v1, 1.0
	v_div_fmas_f32 v12, v4, v20, v26
	v_div_fixup_f32 v4, v9, v0, 1.0
	v_div_fixup_f32 v0, v11, v6, 1.0
	s_delay_alu instid0(VALU_DEP_3)
	v_div_fixup_f32 v1, v12, v7, 1.0
.LBB7_6:
	s_wait_loadcnt 0x2
	s_delay_alu instid0(VALU_DEP_1) | instskip(SKIP_1) | instid1(VALU_DEP_2)
	v_dual_mov_b32 v6, v4 :: v_dual_mov_b32 v7, v5
	s_wait_loadcnt 0x0
	v_dual_mov_b32 v10, v0 :: v_dual_mov_b32 v11, v1
.LBB7_7:
	s_lshr_b32 s1, s4, 8
	s_cmp_gt_i32 s13, 0
	s_mov_b32 s2, 0
	s_cbranch_scc1 .LBB7_9
; %bb.8:
	s_bitcmp1_b32 s1, 0
	s_cselect_b32 s5, -1, 0
	s_branch .LBB7_10
.LBB7_9:
	s_mov_b32 s2, -1
                                        ; implicit-def: $sgpr5
.LBB7_10:
	v_dual_add_nc_u32 v22, 32, v19 :: v_dual_add_nc_u32 v21, 64, v19
	v_add_nc_u32_e32 v20, 0x60, v19
	v_mbcnt_lo_u32_b32 v9, -1, 0
	s_and_not1_b32 vcc_lo, exec_lo, s2
	s_mov_b32 s4, 0
	s_cbranch_vccnz .LBB7_37
; %bb.11:
	s_clause 0x3
	global_load_b32 v16, v19, s[10:11] scale_offset
	global_load_b32 v14, v19, s[10:11] offset:256 scale_offset
	global_load_b32 v15, v19, s[10:11] offset:384 scale_offset
	;; [unrolled: 1-line block ×3, first 2 shown]
	s_wait_loadcnt 0x7
	v_cmp_o_f32_e32 vcc_lo, v6, v6
	v_lshl_add_u64 v[12:13], v[2:3], 2, s[8:9]
	v_dual_mov_b32 v2, 0 :: v_dual_bitop2_b32 v3, 16, v9 bitop3:0x14
	v_xor_b32_e32 v24, 2, v9
	v_dual_cndmask_b32 v6, 0xff7fffff, v6 :: v_dual_mov_b32 v1, 0
	s_wait_loadcnt 0x6
	v_cmp_o_f32_e32 vcc_lo, v7, v7
	s_wait_xcnt 0x4
	v_dual_mov_b32 v4, 0 :: v_dual_bitop2_b32 v23, 4, v9 bitop3:0x14
	s_bitcmp1_b32 s1, 0
	v_dual_mov_b32 v0, 0 :: v_dual_cndmask_b32 v7, 0xff7fffff, v7
	s_wait_loadcnt 0x5
	v_cmp_o_f32_e32 vcc_lo, v10, v10
	s_cselect_b32 s5, -1, 0
	v_cndmask_b32_e32 v10, 0xff7fffff, v10, vcc_lo
	s_wait_loadcnt 0x4
	v_cmp_o_f32_e32 vcc_lo, v11, v11
	v_cndmask_b32_e32 v11, 0xff7fffff, v11, vcc_lo
	v_cmp_gt_i32_e32 vcc_lo, 32, v3
	v_dual_cndmask_b32 v3, v9, v3, vcc_lo :: v_dual_bitop2_b32 v5, 8, v9 bitop3:0x14
	s_delay_alu instid0(VALU_DEP_1) | instskip(SKIP_2) | instid1(VALU_DEP_4)
	v_cmp_gt_i32_e32 vcc_lo, 32, v5
	v_cndmask_b32_e32 v26, v9, v5, vcc_lo
	v_cmp_gt_i32_e32 vcc_lo, 32, v23
	v_dual_lshlrev_b32 v5, 2, v3 :: v_dual_mov_b32 v3, 0
	v_cndmask_b32_e32 v27, v9, v23, vcc_lo
	v_cmp_gt_i32_e32 vcc_lo, 32, v24
	s_delay_alu instid0(VALU_DEP_2) | instskip(SKIP_1) | instid1(VALU_DEP_1)
	v_dual_cndmask_b32 v28, v9, v24, vcc_lo :: v_dual_lshlrev_b32 v24, 2, v27
	v_dual_lshlrev_b32 v23, 2, v26 :: v_dual_bitop2_b32 v25, 1, v9 bitop3:0x14
	v_cmp_gt_i32_e32 vcc_lo, 32, v25
	s_delay_alu instid0(VALU_DEP_3) | instskip(NEXT) | instid1(VALU_DEP_1)
	v_dual_cndmask_b32 v29, v9, v25, vcc_lo :: v_dual_lshlrev_b32 v25, 2, v28
	v_lshlrev_b32_e32 v26, 2, v29
	s_wait_loadcnt 0x1
	v_pk_add_f32 v[14:15], v[10:11], v[14:15]
	s_wait_loadcnt 0x0
	v_pk_add_f32 v[16:17], v[6:7], v[16:17]
	s_branch .LBB7_13
.LBB7_12:                               ;   in Loop: Header=BB7_13 Depth=1
	s_wait_xcnt 0x0
	s_or_b32 exec_lo, exec_lo, s1
	s_lshr_b32 s3, s4, 5
	s_and_b32 s8, s4, 31
	s_cmp_eq_u32 s3, 0
	v_add_nc_u64_e32 v[12:13], 4, v[12:13]
	s_cselect_b32 vcc_lo, -1, 0
	s_cmp_eq_u32 s3, 1
	s_cselect_b32 s1, -1, 0
	s_cmp_eq_u32 s3, 2
	s_wait_dscnt 0x0
	v_cndmask_b32_e64 v30, v1, v27, s1
	s_cselect_b32 s2, -1, 0
	s_cmp_eq_u32 s3, 3
	v_cndmask_b32_e64 v29, v2, v27, s2
	s_cselect_b32 s3, -1, 0
	s_add_co_i32 s4, s4, 1
	v_cndmask_b32_e64 v28, v3, v27, s3
	v_cmp_eq_u32_e64 s3, s8, v19
	v_cndmask_b32_e32 v27, v0, v27, vcc_lo
	s_cmp_eq_u32 s13, s4
	v_dual_cndmask_b32 v3, v3, v28, s3 :: v_dual_cndmask_b32 v2, v2, v29, s3
	s_delay_alu instid0(VALU_DEP_2)
	v_dual_cndmask_b32 v1, v1, v30, s3 :: v_dual_cndmask_b32 v0, v0, v27, s3
	s_cbranch_scc1 .LBB7_38
.LBB7_13:                               ; =>This Inner Loop Header: Depth=1
	s_delay_alu instid0(VALU_DEP_1) | instskip(SKIP_2) | instid1(VALU_DEP_1)
	v_cmp_gt_f32_e32 vcc_lo, v17, v16
	s_mov_b32 s3, exec_lo
	v_dual_cndmask_b32 v27, v6, v7 :: v_dual_cndmask_b32 v28, v16, v17
	v_cmp_gt_f32_e64 s1, v14, v28
	s_delay_alu instid0(VALU_DEP_1) | instskip(NEXT) | instid1(VALU_DEP_1)
	v_cndmask_b32_e64 v28, v28, v14, s1
	v_cmp_gt_f32_e64 s2, v15, v28
	v_cndmask_b32_e32 v30, v19, v22, vcc_lo
	s_delay_alu instid0(VALU_DEP_2) | instskip(NEXT) | instid1(VALU_DEP_1)
	v_dual_cndmask_b32 v27, v27, v10, s1 :: v_dual_cndmask_b32 v29, v28, v15, s2
	v_dual_cndmask_b32 v28, v30, v21, s1 :: v_dual_cndmask_b32 v27, v27, v11, s2
	ds_bpermute_b32 v30, v5, v29
	v_cndmask_b32_e64 v28, v28, v20, s2
	ds_bpermute_b32 v32, v5, v27
	ds_bpermute_b32 v31, v5, v28
	s_wait_dscnt 0x2
	v_cmp_lt_f32_e64 s2, v29, v30
	v_cmpx_nlt_f32_e32 v29, v30
	s_cbranch_execz .LBB7_15
; %bb.14:                               ;   in Loop: Header=BB7_13 Depth=1
	v_cmp_eq_f32_e32 vcc_lo, v29, v30
	s_wait_dscnt 0x0
	v_cmp_lt_i32_e64 s1, v31, v28
	s_and_not1_b32 s2, s2, exec_lo
	s_and_b32 s1, vcc_lo, s1
	s_delay_alu instid0(SALU_CYCLE_1) | instskip(NEXT) | instid1(SALU_CYCLE_1)
	s_and_b32 s1, s1, exec_lo
	s_or_b32 s2, s2, s1
.LBB7_15:                               ;   in Loop: Header=BB7_13 Depth=1
	s_or_b32 exec_lo, exec_lo, s3
	s_and_saveexec_b32 s1, s2
	s_cbranch_execz .LBB7_17
; %bb.16:                               ;   in Loop: Header=BB7_13 Depth=1
	s_wait_dscnt 0x1
	v_dual_mov_b32 v29, v30 :: v_dual_mov_b32 v27, v32
	s_wait_dscnt 0x0
	v_mov_b32_e32 v28, v31
.LBB7_17:                               ;   in Loop: Header=BB7_13 Depth=1
	s_or_b32 exec_lo, exec_lo, s1
	s_wait_dscnt 0x1
	ds_bpermute_b32 v32, v23, v29
	s_wait_dscnt 0x1
	ds_bpermute_b32 v31, v23, v27
	ds_bpermute_b32 v30, v23, v28
	s_mov_b32 s3, exec_lo
	s_wait_dscnt 0x2
	v_cmp_lt_f32_e64 s2, v29, v32
	v_cmpx_nlt_f32_e32 v29, v32
	s_cbranch_execz .LBB7_19
; %bb.18:                               ;   in Loop: Header=BB7_13 Depth=1
	v_cmp_eq_f32_e32 vcc_lo, v29, v32
	s_wait_dscnt 0x0
	v_cmp_lt_i32_e64 s1, v30, v28
	s_and_not1_b32 s2, s2, exec_lo
	s_and_b32 s1, vcc_lo, s1
	s_delay_alu instid0(SALU_CYCLE_1) | instskip(NEXT) | instid1(SALU_CYCLE_1)
	s_and_b32 s1, s1, exec_lo
	s_or_b32 s2, s2, s1
.LBB7_19:                               ;   in Loop: Header=BB7_13 Depth=1
	s_or_b32 exec_lo, exec_lo, s3
	s_and_saveexec_b32 s1, s2
	s_cbranch_execz .LBB7_21
; %bb.20:                               ;   in Loop: Header=BB7_13 Depth=1
	s_wait_dscnt 0x1
	v_dual_mov_b32 v29, v32 :: v_dual_mov_b32 v27, v31
	s_wait_dscnt 0x0
	v_mov_b32_e32 v28, v30
.LBB7_21:                               ;   in Loop: Header=BB7_13 Depth=1
	s_or_b32 exec_lo, exec_lo, s1
	ds_bpermute_b32 v32, v24, v29
	s_wait_dscnt 0x2
	ds_bpermute_b32 v31, v24, v27
	s_wait_dscnt 0x2
	ds_bpermute_b32 v30, v24, v28
	s_mov_b32 s3, exec_lo
	s_wait_dscnt 0x2
	v_cmp_lt_f32_e64 s2, v29, v32
	v_cmpx_nlt_f32_e32 v29, v32
	s_cbranch_execz .LBB7_23
; %bb.22:                               ;   in Loop: Header=BB7_13 Depth=1
	v_cmp_eq_f32_e32 vcc_lo, v29, v32
	s_wait_dscnt 0x0
	v_cmp_lt_i32_e64 s1, v30, v28
	s_and_not1_b32 s2, s2, exec_lo
	s_and_b32 s1, vcc_lo, s1
	s_delay_alu instid0(SALU_CYCLE_1) | instskip(NEXT) | instid1(SALU_CYCLE_1)
	s_and_b32 s1, s1, exec_lo
	s_or_b32 s2, s2, s1
.LBB7_23:                               ;   in Loop: Header=BB7_13 Depth=1
	s_or_b32 exec_lo, exec_lo, s3
	s_and_saveexec_b32 s1, s2
	s_cbranch_execz .LBB7_25
; %bb.24:                               ;   in Loop: Header=BB7_13 Depth=1
	s_wait_dscnt 0x1
	v_dual_mov_b32 v29, v32 :: v_dual_mov_b32 v27, v31
	s_wait_dscnt 0x0
	v_mov_b32_e32 v28, v30
.LBB7_25:                               ;   in Loop: Header=BB7_13 Depth=1
	s_or_b32 exec_lo, exec_lo, s1
	ds_bpermute_b32 v32, v25, v29
	s_wait_dscnt 0x2
	ds_bpermute_b32 v31, v25, v27
	s_wait_dscnt 0x2
	ds_bpermute_b32 v30, v25, v28
	s_mov_b32 s3, exec_lo
	s_wait_dscnt 0x2
	v_cmp_lt_f32_e64 s2, v29, v32
	v_cmpx_nlt_f32_e32 v29, v32
	s_cbranch_execz .LBB7_27
; %bb.26:                               ;   in Loop: Header=BB7_13 Depth=1
	v_cmp_eq_f32_e32 vcc_lo, v29, v32
	s_wait_dscnt 0x0
	v_cmp_lt_i32_e64 s1, v30, v28
	s_and_not1_b32 s2, s2, exec_lo
	s_and_b32 s1, vcc_lo, s1
	s_delay_alu instid0(SALU_CYCLE_1) | instskip(NEXT) | instid1(SALU_CYCLE_1)
	s_and_b32 s1, s1, exec_lo
	s_or_b32 s2, s2, s1
.LBB7_27:                               ;   in Loop: Header=BB7_13 Depth=1
	s_or_b32 exec_lo, exec_lo, s3
	s_and_saveexec_b32 s1, s2
	s_cbranch_execz .LBB7_29
; %bb.28:                               ;   in Loop: Header=BB7_13 Depth=1
	s_wait_dscnt 0x1
	v_dual_mov_b32 v29, v32 :: v_dual_mov_b32 v27, v31
	s_wait_dscnt 0x0
	v_mov_b32_e32 v28, v30
.LBB7_29:                               ;   in Loop: Header=BB7_13 Depth=1
	s_or_b32 exec_lo, exec_lo, s1
	ds_bpermute_b32 v32, v26, v29
	s_wait_dscnt 0x2
	ds_bpermute_b32 v31, v26, v27
	s_wait_dscnt 0x2
	ds_bpermute_b32 v30, v26, v28
	s_mov_b32 s3, exec_lo
	s_wait_dscnt 0x2
	v_cmp_lt_f32_e64 s2, v29, v32
	v_cmpx_nlt_f32_e32 v29, v32
	s_cbranch_execz .LBB7_31
; %bb.30:                               ;   in Loop: Header=BB7_13 Depth=1
	v_cmp_eq_f32_e32 vcc_lo, v29, v32
	s_wait_dscnt 0x0
	v_cmp_lt_i32_e64 s1, v30, v28
	s_and_not1_b32 s2, s2, exec_lo
	s_and_b32 s1, vcc_lo, s1
	s_delay_alu instid0(SALU_CYCLE_1) | instskip(NEXT) | instid1(SALU_CYCLE_1)
	s_and_b32 s1, s1, exec_lo
	s_or_b32 s2, s2, s1
.LBB7_31:                               ;   in Loop: Header=BB7_13 Depth=1
	s_or_b32 exec_lo, exec_lo, s3
	s_and_saveexec_b32 s1, s2
	s_cbranch_execz .LBB7_33
; %bb.32:                               ;   in Loop: Header=BB7_13 Depth=1
	s_wait_dscnt 0x0
	v_dual_mov_b32 v27, v31 :: v_dual_mov_b32 v28, v30
.LBB7_33:                               ;   in Loop: Header=BB7_13 Depth=1
	s_or_b32 exec_lo, exec_lo, s1
	s_delay_alu instid0(VALU_DEP_1) | instskip(NEXT) | instid1(VALU_DEP_1)
	v_and_b32_e32 v29, 31, v28
	v_cmp_eq_u32_e32 vcc_lo, v29, v19
	s_and_saveexec_b32 s2, vcc_lo
	s_cbranch_execz .LBB7_35
; %bb.34:                               ;   in Loop: Header=BB7_13 Depth=1
	v_ashrrev_i32_e32 v29, 31, v28
	s_delay_alu instid0(VALU_DEP_1) | instskip(NEXT) | instid1(VALU_DEP_1)
	v_lshrrev_b32_e32 v29, 27, v29
	v_add_nc_u32_e32 v29, v28, v29
	s_delay_alu instid0(VALU_DEP_1) | instskip(NEXT) | instid1(VALU_DEP_1)
	v_ashrrev_i32_e32 v29, 5, v29
	v_cmp_ne_u32_e64 s1, 3, v29
	s_delay_alu instid0(VALU_DEP_1) | instskip(SKIP_1) | instid1(VALU_DEP_1)
	v_cndmask_b32_e64 v15, 0xff800000, v15, s1
	v_cmp_ne_u32_e64 s1, 2, v29
	v_cndmask_b32_e64 v14, 0xff800000, v14, s1
	v_cmp_ne_u32_e64 s1, 1, v29
	s_delay_alu instid0(VALU_DEP_1) | instskip(SKIP_1) | instid1(VALU_DEP_1)
	v_cndmask_b32_e64 v17, 0xff800000, v17, s1
	v_cmp_ne_u32_e64 s1, 0, v29
	v_cndmask_b32_e64 v16, 0xff800000, v16, s1
.LBB7_35:                               ;   in Loop: Header=BB7_13 Depth=1
	s_or_b32 exec_lo, exec_lo, s2
	s_and_saveexec_b32 s1, vcc_lo
	s_cbranch_execz .LBB7_12
; %bb.36:                               ;   in Loop: Header=BB7_13 Depth=1
	v_add_f32_e32 v29, v4, v27
	global_store_b32 v[12:13], v28, off
	v_cndmask_b32_e64 v4, v4, v29, s5
	s_branch .LBB7_12
.LBB7_37:
	s_wait_xcnt 0x0
	v_mov_b32_e32 v4, 0
	s_wait_loadcnt 0x3
	s_delay_alu instid0(VALU_DEP_1) | instskip(SKIP_2) | instid1(VALU_DEP_2)
	v_dual_mov_b32 v5, v4 :: v_dual_mov_b32 v6, v4
	s_wait_loadcnt 0x2
	v_mov_b32_e32 v7, v4
	v_mov_b64_e32 v[0:1], v[4:5]
	s_delay_alu instid0(VALU_DEP_2)
	v_mov_b64_e32 v[2:3], v[6:7]
.LBB7_38:
	s_and_b32 vcc_lo, exec_lo, s5
	s_cbranch_vccz .LBB7_40
; %bb.39:
	v_xor_b32_e32 v6, 8, v9
	v_xor_b32_e32 v5, 16, v9
	s_delay_alu instid0(VALU_DEP_1) | instskip(SKIP_1) | instid1(VALU_DEP_4)
	v_cmp_gt_i32_e32 vcc_lo, 32, v5
	v_cndmask_b32_e32 v5, v9, v5, vcc_lo
	v_cmp_gt_i32_e32 vcc_lo, 32, v6
	v_cndmask_b32_e32 v6, v9, v6, vcc_lo
	s_delay_alu instid0(VALU_DEP_1)
	v_dual_lshlrev_b32 v6, 2, v6 :: v_dual_lshlrev_b32 v5, 2, v5
	ds_bpermute_b32 v5, v5, v4
	s_wait_dscnt 0x0
	v_add_f32_e32 v4, v4, v5
	ds_bpermute_b32 v5, v6, v4
	v_xor_b32_e32 v6, 4, v9
	s_delay_alu instid0(VALU_DEP_1) | instskip(SKIP_2) | instid1(VALU_DEP_1)
	v_cmp_gt_i32_e32 vcc_lo, 32, v6
	v_cndmask_b32_e32 v6, v9, v6, vcc_lo
	s_wait_dscnt 0x0
	v_dual_lshlrev_b32 v6, 2, v6 :: v_dual_add_f32 v4, v4, v5
	ds_bpermute_b32 v5, v6, v4
	v_xor_b32_e32 v6, 2, v9
	s_delay_alu instid0(VALU_DEP_1) | instskip(SKIP_2) | instid1(VALU_DEP_1)
	v_cmp_gt_i32_e32 vcc_lo, 32, v6
	v_cndmask_b32_e32 v6, v9, v6, vcc_lo
	s_wait_dscnt 0x0
	v_dual_lshlrev_b32 v6, 2, v6 :: v_dual_add_f32 v4, v4, v5
	ds_bpermute_b32 v5, v6, v4
	v_xor_b32_e32 v6, 1, v9
	s_delay_alu instid0(VALU_DEP_1) | instskip(SKIP_2) | instid1(VALU_DEP_1)
	v_cmp_gt_i32_e32 vcc_lo, 32, v6
	s_wait_dscnt 0x0
	v_dual_cndmask_b32 v6, v9, v6, vcc_lo :: v_dual_add_f32 v4, v4, v5
	v_lshlrev_b32_e32 v6, 2, v6
	ds_bpermute_b32 v5, v6, v4
	v_max_num_f32_e64 v6, s14, s14
	s_wait_dscnt 0x0
	v_add_f32_e32 v4, v4, v5
	s_delay_alu instid0(VALU_DEP_1) | instskip(NEXT) | instid1(VALU_DEP_1)
	v_max_num_f32_e32 v4, v4, v6
	v_div_scale_f32 v5, null, v4, v4, 1.0
	s_delay_alu instid0(VALU_DEP_1) | instskip(SKIP_1) | instid1(TRANS32_DEP_1)
	v_rcp_f32_e32 v6, v5
	v_nop
	v_fma_f32 v7, -v5, v6, 1.0
	s_delay_alu instid0(VALU_DEP_1) | instskip(SKIP_2) | instid1(VALU_DEP_1)
	v_fmac_f32_e32 v6, v7, v6
	s_wait_loadcnt 0x1
	v_div_scale_f32 v10, vcc_lo, 1.0, v4, 1.0
	v_mul_f32_e32 v7, v10, v6
	s_wait_loadcnt 0x0
	s_delay_alu instid0(VALU_DEP_1) | instskip(NEXT) | instid1(VALU_DEP_1)
	v_fma_f32 v11, -v5, v7, v10
	v_fmac_f32_e32 v7, v11, v6
	s_delay_alu instid0(VALU_DEP_1) | instskip(NEXT) | instid1(VALU_DEP_1)
	v_fma_f32 v5, -v5, v7, v10
	v_div_fmas_f32 v5, v5, v6, v7
	s_delay_alu instid0(VALU_DEP_1) | instskip(NEXT) | instid1(VALU_DEP_1)
	v_div_fixup_f32 v4, v5, v4, 1.0
	v_pk_mul_f32 v[2:3], v[4:5], v[2:3] op_sel_hi:[0,1]
	v_pk_mul_f32 v[0:1], v[4:5], v[0:1] op_sel_hi:[0,1]
.LBB7_40:
	v_cmp_gt_i32_e64 s1, s13, v22
	v_cmp_gt_i32_e64 s2, s13, v21
	v_cmp_gt_i32_e64 s3, s13, v20
	v_cmp_gt_i32_e64 s4, s13, v19
	s_and_not1_b32 vcc_lo, exec_lo, s0
	s_cbranch_vccnz .LBB7_42
; %bb.41:
	v_dual_max_num_f32 v4, v0, v0 :: v_dual_max_num_f32 v5, v1, v1
	s_mov_b32 s0, 0
	v_dual_max_num_f32 v7, v3, v3 :: v_dual_max_num_f32 v6, v2, v2
	s_delay_alu instid0(VALU_DEP_2)
	v_max_num_f32_e32 v4, 0xff800000, v4
	s_wait_loadcnt 0x1
	v_xor_b32_e32 v10, 4, v9
	s_wait_loadcnt 0x0
	v_xor_b32_e32 v11, 2, v9
	v_xor_b32_e32 v12, 1, v9
	v_cndmask_b32_e64 v4, 0xff800000, v4, s4
	s_delay_alu instid0(VALU_DEP_1) | instskip(NEXT) | instid1(VALU_DEP_1)
	v_max_num_f32_e32 v5, v4, v5
	v_cndmask_b32_e64 v4, v4, v5, s1
	s_delay_alu instid0(VALU_DEP_1) | instskip(NEXT) | instid1(VALU_DEP_1)
	v_dual_max_num_f32 v5, v4, v6 :: v_dual_bitop2_b32 v6, 16, v9 bitop3:0x14
	v_cndmask_b32_e64 v4, v4, v5, s2
	s_delay_alu instid0(VALU_DEP_2) | instskip(SKIP_1) | instid1(VALU_DEP_1)
	v_cmp_gt_i32_e32 vcc_lo, 32, v6
	v_cndmask_b32_e32 v5, v9, v6, vcc_lo
	v_dual_max_num_f32 v6, v4, v7 :: v_dual_lshlrev_b32 v5, 2, v5
	v_xor_b32_e32 v7, 8, v9
	s_delay_alu instid0(VALU_DEP_1) | instskip(NEXT) | instid1(VALU_DEP_3)
	v_cmp_gt_i32_e32 vcc_lo, 32, v7
	v_dual_cndmask_b32 v4, v4, v6, s3 :: v_dual_cndmask_b32 v7, v9, v7, vcc_lo
	ds_bpermute_b32 v6, v5, v4
	v_cmp_gt_i32_e32 vcc_lo, 32, v10
	v_dual_cndmask_b32 v10, v9, v10 :: v_dual_lshlrev_b32 v7, 2, v7
	v_cmp_gt_i32_e32 vcc_lo, 32, v11
	s_delay_alu instid0(VALU_DEP_2) | instskip(SKIP_2) | instid1(VALU_DEP_2)
	v_dual_cndmask_b32 v11, v9, v11 :: v_dual_lshlrev_b32 v10, 2, v10
	v_cmp_gt_i32_e32 vcc_lo, 32, v12
	s_wait_dscnt 0x0
	v_dual_max_num_f32 v6, v6, v6 :: v_dual_lshlrev_b32 v11, 2, v11
	s_delay_alu instid0(VALU_DEP_1) | instskip(SKIP_3) | instid1(VALU_DEP_1)
	v_max_num_f32_e32 v4, v4, v6
	ds_bpermute_b32 v6, v7, v4
	s_wait_dscnt 0x0
	v_max_num_f32_e32 v6, v6, v6
	v_max_num_f32_e32 v4, v4, v6
	ds_bpermute_b32 v6, v10, v4
	s_wait_dscnt 0x0
	v_max_num_f32_e32 v6, v6, v6
	s_delay_alu instid0(VALU_DEP_1) | instskip(SKIP_3) | instid1(VALU_DEP_1)
	v_max_num_f32_e32 v4, v4, v6
	ds_bpermute_b32 v6, v11, v4
	s_wait_dscnt 0x0
	v_dual_cndmask_b32 v9, v9, v12 :: v_dual_max_num_f32 v6, v6, v6
	v_dual_max_num_f32 v4, v4, v6 :: v_dual_lshlrev_b32 v9, 2, v9
	ds_bpermute_b32 v6, v9, v4
	s_wait_dscnt 0x0
	v_max_num_f32_e32 v6, v6, v6
	s_delay_alu instid0(VALU_DEP_1) | instskip(NEXT) | instid1(VALU_DEP_1)
	v_max_num_f32_e32 v4, v4, v6
	v_sub_f32_e32 v3, v3, v4
	s_delay_alu instid0(VALU_DEP_1) | instskip(SKIP_1) | instid1(VALU_DEP_2)
	v_dual_mul_f32 v13, 0x3fb8aa3b, v3 :: v_dual_sub_f32 v0, v0, v4
	v_dual_sub_f32 v1, v1, v4 :: v_dual_sub_f32 v2, v2, v4
	v_mul_f32_e32 v4, 0x3fb8aa3b, v0
	s_delay_alu instid0(VALU_DEP_2) | instskip(NEXT) | instid1(VALU_DEP_4)
	v_mul_f32_e32 v6, 0x3fb8aa3b, v1
	v_fma_f32 v25, 0x3fb8aa3b, v3, -v13
	v_cmp_ngt_f32_e32 vcc_lo, 0xc2ce8ed0, v0
	s_delay_alu instid0(VALU_DEP_4) | instskip(SKIP_3) | instid1(VALU_DEP_4)
	v_fma_f32 v14, 0x3fb8aa3b, v0, -v4
	v_rndne_f32_e32 v15, v4
	v_fma_f32 v16, 0x3fb8aa3b, v1, -v6
	v_rndne_f32_e32 v17, v6
	v_dual_fmac_f32 v25, 0x32a5705f, v3 :: v_dual_fmac_f32 v14, 0x32a5705f, v0
	s_delay_alu instid0(VALU_DEP_4) | instskip(NEXT) | instid1(VALU_DEP_4)
	v_sub_f32_e32 v4, v4, v15
	v_fmac_f32_e32 v16, 0x32a5705f, v1
	s_delay_alu instid0(VALU_DEP_4) | instskip(SKIP_1) | instid1(VALU_DEP_4)
	v_sub_f32_e32 v6, v6, v17
	v_cvt_i32_f32_e32 v15, v15
	v_add_f32_e32 v4, v4, v14
	v_rndne_f32_e32 v14, v13
	s_delay_alu instid0(VALU_DEP_4) | instskip(SKIP_1) | instid1(VALU_DEP_4)
	v_add_f32_e32 v6, v6, v16
	v_cvt_i32_f32_e32 v16, v17
	v_exp_f32_e32 v4, v4
	s_delay_alu instid0(VALU_DEP_3) | instskip(NEXT) | instid1(VALU_DEP_3)
	v_sub_f32_e32 v13, v13, v14
	v_exp_f32_e32 v6, v6
	s_delay_alu instid0(VALU_DEP_1) | instskip(NEXT) | instid1(TRANS32_DEP_2)
	v_dual_mul_f32 v12, 0x3fb8aa3b, v2 :: v_dual_add_f32 v13, v13, v25
	v_ldexp_f32 v4, v4, v15
	s_delay_alu instid0(VALU_DEP_2) | instskip(SKIP_1) | instid1(TRANS32_DEP_1)
	v_fma_f32 v23, 0x3fb8aa3b, v2, -v12
	v_rndne_f32_e32 v24, v12
	v_ldexp_f32 v6, v6, v16
	s_delay_alu instid0(VALU_DEP_4) | instskip(SKIP_1) | instid1(VALU_DEP_4)
	v_cndmask_b32_e32 v4, 0, v4, vcc_lo
	v_cmp_ngt_f32_e32 vcc_lo, 0xc2ce8ed0, v1
	v_dual_fmac_f32 v23, 0x32a5705f, v2 :: v_dual_sub_f32 v12, v12, v24
	v_cvt_i32_f32_e32 v17, v24
	v_cndmask_b32_e32 v6, 0, v6, vcc_lo
	v_cmp_nlt_f32_e32 vcc_lo, 0x42b17218, v0
	v_cndmask_b32_e32 v0, 0x7f800000, v4, vcc_lo
	v_add_f32_e32 v12, v12, v23
	v_cmp_nlt_f32_e32 vcc_lo, 0x42b17218, v1
	v_exp_f32_e32 v4, v13
	v_cvt_i32_f32_e32 v1, v14
	v_cndmask_b32_e64 v0, 0, v0, s4
	v_exp_f32_e32 v12, v12
	v_cndmask_b32_e32 v6, 0x7f800000, v6, vcc_lo
	v_cmp_ngt_f32_e32 vcc_lo, 0xc2ce8ed0, v2
	s_delay_alu instid0(TRANS32_DEP_2) | instskip(NEXT) | instid1(VALU_DEP_3)
	v_ldexp_f32 v1, v4, v1
	v_add_f32_e32 v13, v6, v0
	s_delay_alu instid0(TRANS32_DEP_1) | instskip(NEXT) | instid1(VALU_DEP_1)
	v_ldexp_f32 v12, v12, v17
	v_cndmask_b32_e32 v12, 0, v12, vcc_lo
	v_cmp_nlt_f32_e32 vcc_lo, 0x42b17218, v2
	s_delay_alu instid0(VALU_DEP_4) | instskip(NEXT) | instid1(VALU_DEP_3)
	v_cndmask_b32_e64 v2, v0, v13, s1
	v_cndmask_b32_e32 v4, 0x7f800000, v12, vcc_lo
	v_cmp_ngt_f32_e32 vcc_lo, 0xc2ce8ed0, v3
	v_cndmask_b32_e32 v1, 0, v1, vcc_lo
	v_cmp_nlt_f32_e32 vcc_lo, 0x42b17218, v3
	s_delay_alu instid0(VALU_DEP_2) | instskip(NEXT) | instid1(VALU_DEP_1)
	v_dual_add_f32 v12, v2, v4 :: v_dual_cndmask_b32 v13, 0x7f800000, v1
	v_cndmask_b32_e64 v1, v2, v12, s2
	s_delay_alu instid0(VALU_DEP_1) | instskip(NEXT) | instid1(VALU_DEP_1)
	v_add_f32_e32 v2, v1, v13
	v_cndmask_b32_e64 v1, v1, v2, s3
	ds_bpermute_b32 v2, v5, v1
	s_wait_dscnt 0x0
	v_add_f32_e32 v1, v1, v2
	ds_bpermute_b32 v2, v7, v1
	s_wait_dscnt 0x0
	v_add_f32_e32 v1, v1, v2
	;; [unrolled: 3-line block ×5, first 2 shown]
	s_delay_alu instid0(VALU_DEP_1) | instskip(SKIP_1) | instid1(VALU_DEP_2)
	v_div_scale_f32 v1, null, v5, v5, 1.0
	v_div_scale_f32 v7, vcc_lo, 1.0, v5, 1.0
	v_rcp_f32_e32 v2, v1
	v_nop
	s_delay_alu instid0(TRANS32_DEP_1) | instskip(NEXT) | instid1(VALU_DEP_1)
	v_fma_f32 v3, -v1, v2, 1.0
	v_fmac_f32_e32 v2, v3, v2
	s_delay_alu instid0(VALU_DEP_1) | instskip(NEXT) | instid1(VALU_DEP_1)
	v_mul_f32_e32 v3, v7, v2
	v_fma_f32 v9, -v1, v3, v7
	s_delay_alu instid0(VALU_DEP_1) | instskip(NEXT) | instid1(VALU_DEP_1)
	v_fmac_f32_e32 v3, v9, v2
	v_dual_fma_f32 v7, -v1, v3, v7 :: v_dual_mov_b32 v1, s0
	s_delay_alu instid0(VALU_DEP_1) | instskip(SKIP_1) | instid1(VALU_DEP_2)
	v_div_fmas_f32 v7, v7, v2, v3
	v_mov_b32_e32 v2, s0
	v_div_fixup_f32 v5, v7, v5, 1.0
	s_delay_alu instid0(VALU_DEP_2) | instskip(SKIP_1) | instid1(VALU_DEP_3)
	v_dual_cndmask_b32 v2, v2, v4, s2 :: v_dual_cndmask_b32 v4, 0, v4, s2
	v_cndmask_b32_e64 v7, 0, v13, s3
	v_dual_mul_f32 v9, v0, v5 :: v_dual_mov_b32 v3, s0
	v_dual_cndmask_b32 v1, v1, v6, s1 :: v_dual_cndmask_b32 v6, 0, v6, s1
	s_delay_alu instid0(VALU_DEP_4) | instskip(NEXT) | instid1(VALU_DEP_3)
	v_mul_f32_e32 v4, v4, v5
	v_cndmask_b32_e64 v0, v0, v9, s4
	s_delay_alu instid0(VALU_DEP_3) | instskip(SKIP_1) | instid1(VALU_DEP_4)
	v_mul_f32_e32 v6, v6, v5
	v_cndmask_b32_e64 v3, v3, v13, s3
	v_dual_mul_f32 v5, v7, v5 :: v_dual_cndmask_b32 v2, v2, v4, s2
	s_delay_alu instid0(VALU_DEP_1)
	v_dual_cndmask_b32 v1, v1, v6, s1 :: v_dual_cndmask_b32 v3, v3, v5, s3
.LBB7_42:
	v_mul_lo_u32 v4, v18, s13
	s_mov_b32 s0, exec_lo
	s_delay_alu instid0(VALU_DEP_1) | instskip(NEXT) | instid1(VALU_DEP_1)
	v_ashrrev_i32_e32 v5, 31, v4
	v_lshl_add_u64 v[4:5], v[4:5], 2, s[6:7]
	v_cmpx_gt_i32_e64 s13, v19
	s_cbranch_execnz .LBB7_48
; %bb.43:
	s_or_b32 exec_lo, exec_lo, s0
	s_delay_alu instid0(SALU_CYCLE_1)
	s_mov_b32 s0, exec_lo
	v_cmpx_gt_i32_e64 s13, v22
	s_cbranch_execnz .LBB7_49
.LBB7_44:
	s_or_b32 exec_lo, exec_lo, s0
	s_delay_alu instid0(SALU_CYCLE_1)
	s_mov_b32 s0, exec_lo
	v_cmpx_gt_i32_e64 s13, v21
	s_cbranch_execnz .LBB7_50
.LBB7_45:
	s_or_b32 exec_lo, exec_lo, s0
	v_cmp_gt_i32_e32 vcc_lo, s13, v20
	s_and_b32 exec_lo, exec_lo, vcc_lo
	s_cbranch_execz .LBB7_47
.LBB7_46:
	v_dual_mov_b32 v9, 0 :: v_dual_mul_f32 v2, s15, v3
	s_delay_alu instid0(VALU_DEP_1)
	v_add_nc_u64_e32 v[0:1], v[4:5], v[8:9]
	global_store_b32 v[0:1], v2, off offset:384
.LBB7_47:
	s_endpgm
.LBB7_48:
	v_dual_mov_b32 v9, 0 :: v_dual_mul_f32 v0, s15, v0
	s_delay_alu instid0(VALU_DEP_1) | instskip(SKIP_3) | instid1(SALU_CYCLE_1)
	v_add_nc_u64_e32 v[6:7], v[4:5], v[8:9]
	global_store_b32 v[6:7], v0, off
	s_wait_xcnt 0x0
	s_or_b32 exec_lo, exec_lo, s0
	s_mov_b32 s0, exec_lo
	v_cmpx_gt_i32_e64 s13, v22
	s_cbranch_execz .LBB7_44
.LBB7_49:
	v_dual_mov_b32 v9, 0 :: v_dual_mul_f32 v0, s15, v1
	s_delay_alu instid0(VALU_DEP_1) | instskip(SKIP_3) | instid1(SALU_CYCLE_1)
	v_add_nc_u64_e32 v[6:7], v[4:5], v[8:9]
	global_store_b32 v[6:7], v0, off offset:128
	s_wait_xcnt 0x0
	s_or_b32 exec_lo, exec_lo, s0
	s_mov_b32 s0, exec_lo
	v_cmpx_gt_i32_e64 s13, v21
	s_cbranch_execz .LBB7_45
.LBB7_50:
	v_dual_mov_b32 v9, 0 :: v_dual_mul_f32 v2, s15, v2
	s_delay_alu instid0(VALU_DEP_1)
	v_add_nc_u64_e32 v[0:1], v[4:5], v[8:9]
	global_store_b32 v[0:1], v2, off offset:256
	s_wait_xcnt 0x0
	s_or_b32 exec_lo, exec_lo, s0
	v_cmp_gt_i32_e32 vcc_lo, s13, v20
	s_and_b32 exec_lo, exec_lo, vcc_lo
	s_cbranch_execnz .LBB7_46
	s_branch .LBB7_47
	.section	.rodata,"a",@progbits
	.p2align	6, 0x0
	.amdhsa_kernel _Z13topk_moe_cudaILi128ELb1EEvPKfPfPiS2_iiff15topk_moe_config
		.amdhsa_group_segment_fixed_size 0
		.amdhsa_private_segment_fixed_size 0
		.amdhsa_kernarg_size 312
		.amdhsa_user_sgpr_count 2
		.amdhsa_user_sgpr_dispatch_ptr 0
		.amdhsa_user_sgpr_queue_ptr 0
		.amdhsa_user_sgpr_kernarg_segment_ptr 1
		.amdhsa_user_sgpr_dispatch_id 0
		.amdhsa_user_sgpr_kernarg_preload_length 0
		.amdhsa_user_sgpr_kernarg_preload_offset 0
		.amdhsa_user_sgpr_private_segment_size 0
		.amdhsa_wavefront_size32 1
		.amdhsa_uses_dynamic_stack 0
		.amdhsa_enable_private_segment 0
		.amdhsa_system_sgpr_workgroup_id_x 1
		.amdhsa_system_sgpr_workgroup_id_y 0
		.amdhsa_system_sgpr_workgroup_id_z 0
		.amdhsa_system_sgpr_workgroup_info 0
		.amdhsa_system_vgpr_workitem_id 1
		.amdhsa_next_free_vgpr 33
		.amdhsa_next_free_sgpr 16
		.amdhsa_named_barrier_count 0
		.amdhsa_reserve_vcc 1
		.amdhsa_float_round_mode_32 0
		.amdhsa_float_round_mode_16_64 0
		.amdhsa_float_denorm_mode_32 3
		.amdhsa_float_denorm_mode_16_64 3
		.amdhsa_fp16_overflow 0
		.amdhsa_memory_ordered 1
		.amdhsa_forward_progress 1
		.amdhsa_inst_pref_size 41
		.amdhsa_round_robin_scheduling 0
		.amdhsa_exception_fp_ieee_invalid_op 0
		.amdhsa_exception_fp_denorm_src 0
		.amdhsa_exception_fp_ieee_div_zero 0
		.amdhsa_exception_fp_ieee_overflow 0
		.amdhsa_exception_fp_ieee_underflow 0
		.amdhsa_exception_fp_ieee_inexact 0
		.amdhsa_exception_int_div_zero 0
	.end_amdhsa_kernel
	.section	.text._Z13topk_moe_cudaILi128ELb1EEvPKfPfPiS2_iiff15topk_moe_config,"axG",@progbits,_Z13topk_moe_cudaILi128ELb1EEvPKfPfPiS2_iiff15topk_moe_config,comdat
.Lfunc_end7:
	.size	_Z13topk_moe_cudaILi128ELb1EEvPKfPfPiS2_iiff15topk_moe_config, .Lfunc_end7-_Z13topk_moe_cudaILi128ELb1EEvPKfPfPiS2_iiff15topk_moe_config
                                        ; -- End function
	.set _Z13topk_moe_cudaILi128ELb1EEvPKfPfPiS2_iiff15topk_moe_config.num_vgpr, 33
	.set _Z13topk_moe_cudaILi128ELb1EEvPKfPfPiS2_iiff15topk_moe_config.num_agpr, 0
	.set _Z13topk_moe_cudaILi128ELb1EEvPKfPfPiS2_iiff15topk_moe_config.numbered_sgpr, 16
	.set _Z13topk_moe_cudaILi128ELb1EEvPKfPfPiS2_iiff15topk_moe_config.num_named_barrier, 0
	.set _Z13topk_moe_cudaILi128ELb1EEvPKfPfPiS2_iiff15topk_moe_config.private_seg_size, 0
	.set _Z13topk_moe_cudaILi128ELb1EEvPKfPfPiS2_iiff15topk_moe_config.uses_vcc, 1
	.set _Z13topk_moe_cudaILi128ELb1EEvPKfPfPiS2_iiff15topk_moe_config.uses_flat_scratch, 0
	.set _Z13topk_moe_cudaILi128ELb1EEvPKfPfPiS2_iiff15topk_moe_config.has_dyn_sized_stack, 0
	.set _Z13topk_moe_cudaILi128ELb1EEvPKfPfPiS2_iiff15topk_moe_config.has_recursion, 0
	.set _Z13topk_moe_cudaILi128ELb1EEvPKfPfPiS2_iiff15topk_moe_config.has_indirect_call, 0
	.section	.AMDGPU.csdata,"",@progbits
; Kernel info:
; codeLenInByte = 5160
; TotalNumSgprs: 18
; NumVgprs: 33
; ScratchSize: 0
; MemoryBound: 0
; FloatMode: 240
; IeeeMode: 1
; LDSByteSize: 0 bytes/workgroup (compile time only)
; SGPRBlocks: 0
; VGPRBlocks: 2
; NumSGPRsForWavesPerEU: 18
; NumVGPRsForWavesPerEU: 33
; NamedBarCnt: 0
; Occupancy: 16
; WaveLimiterHint : 1
; COMPUTE_PGM_RSRC2:SCRATCH_EN: 0
; COMPUTE_PGM_RSRC2:USER_SGPR: 2
; COMPUTE_PGM_RSRC2:TRAP_HANDLER: 0
; COMPUTE_PGM_RSRC2:TGID_X_EN: 1
; COMPUTE_PGM_RSRC2:TGID_Y_EN: 0
; COMPUTE_PGM_RSRC2:TGID_Z_EN: 0
; COMPUTE_PGM_RSRC2:TIDIG_COMP_CNT: 1
	.section	.text._Z13topk_moe_cudaILi256ELb1EEvPKfPfPiS2_iiff15topk_moe_config,"axG",@progbits,_Z13topk_moe_cudaILi256ELb1EEvPKfPfPiS2_iiff15topk_moe_config,comdat
	.protected	_Z13topk_moe_cudaILi256ELb1EEvPKfPfPiS2_iiff15topk_moe_config ; -- Begin function _Z13topk_moe_cudaILi256ELb1EEvPKfPfPiS2_iiff15topk_moe_config
	.globl	_Z13topk_moe_cudaILi256ELb1EEvPKfPfPiS2_iiff15topk_moe_config
	.p2align	8
	.type	_Z13topk_moe_cudaILi256ELb1EEvPKfPfPiS2_iiff15topk_moe_config,@function
_Z13topk_moe_cudaILi256ELb1EEvPKfPfPiS2_iiff15topk_moe_config: ; @_Z13topk_moe_cudaILi256ELb1EEvPKfPfPiS2_iiff15topk_moe_config
; %bb.0:
	s_clause 0x1
	s_load_u16 s2, s[0:1], 0x46
	s_load_b128 s[16:19], s[0:1], 0x20
	s_bfe_u32 s3, ttmp6, 0x4000c
	s_and_b32 s4, ttmp6, 15
	s_add_co_i32 s3, s3, 1
	v_bfe_u32 v1, v0, 10, 10
	s_mul_i32 s3, ttmp9, s3
	s_delay_alu instid0(SALU_CYCLE_1) | instskip(SKIP_1) | instid1(SALU_CYCLE_1)
	s_add_co_i32 s4, s4, s3
	s_getreg_b32 s3, hwreg(HW_REG_IB_STS2, 6, 4)
	s_cmp_eq_u32 s3, 0
	s_cselect_b32 s3, ttmp9, s4
	s_wait_kmcnt 0x0
	v_mad_u32 v30, s3, s2, v1
	s_mov_b32 s2, exec_lo
	s_delay_alu instid0(VALU_DEP_1)
	v_cmpx_gt_i32_e64 s16, v30
	s_cbranch_execz .LBB8_51
; %bb.1:
	s_load_b256 s[8:15], s[0:1], 0x0
	v_dual_mov_b32 v17, 0 :: v_dual_lshlrev_b32 v2, 8, v30
	v_and_b32_e32 v31, 0x3ff, v0
	s_delay_alu instid0(VALU_DEP_2) | instskip(SKIP_4) | instid1(VALU_DEP_1)
	v_ashrrev_i32_e32 v3, 31, v2
	global_load_u8 v6, v17, s[0:1] offset:50
	v_lshlrev_b32_e32 v16, 2, v31
	s_wait_kmcnt 0x0
	v_lshl_add_u64 v[0:1], v[2:3], 2, s[8:9]
	v_add_nc_u64_e32 v[4:5], v[0:1], v[16:17]
	global_load_u16 v0, v17, s[0:1] offset:48
	s_clause 0x7
	global_load_b32 v10, v[4:5], off
	global_load_b32 v11, v[4:5], off offset:128
	global_load_b32 v12, v[4:5], off offset:256
	;; [unrolled: 1-line block ×7, first 2 shown]
	s_wait_loadcnt 0x9
	v_and_b32_e32 v1, 1, v6
	s_wait_xcnt 0x8
	s_delay_alu instid0(VALU_DEP_1)
	v_cmp_eq_u32_e64 s0, 1, v1
	s_and_b32 vcc_lo, exec_lo, s0
	s_wait_loadcnt 0x8
	v_readfirstlane_b32 s1, v0
	s_and_b32 s5, 0xffff, s1
	s_cbranch_vccnz .LBB8_7
; %bb.2:
	v_and_b32_e32 v0, 1, v0
	s_mov_b32 s1, 0
	s_delay_alu instid0(VALU_DEP_1)
	v_cmp_eq_u32_e32 vcc_lo, 0, v0
	s_cbranch_vccz .LBB8_4
; %bb.3:
	v_mbcnt_lo_u32_b32 v1, -1, 0
	s_wait_loadcnt 0x6
	v_max3_num_f32 v0, v10, 0xff800000, v11
	s_wait_xcnt 0x0
	s_delay_alu instid0(VALU_DEP_2) | instskip(SKIP_1) | instid1(VALU_DEP_2)
	v_xor_b32_e32 v4, 16, v1
	s_wait_loadcnt 0x4
	v_max3_num_f32 v0, v0, v12, v13
	v_xor_b32_e32 v5, 8, v1
	s_delay_alu instid0(VALU_DEP_3) | instskip(SKIP_1) | instid1(VALU_DEP_3)
	v_cmp_gt_i32_e32 vcc_lo, 32, v4
	s_wait_loadcnt 0x2
	v_max3_num_f32 v0, v0, v14, v15
	v_cndmask_b32_e32 v4, v1, v4, vcc_lo
	s_wait_loadcnt 0x0
	s_delay_alu instid0(VALU_DEP_2) | instskip(SKIP_1) | instid1(VALU_DEP_3)
	v_max3_num_f32 v0, v0, v18, v19
	v_cmp_gt_i32_e32 vcc_lo, 32, v5
	v_dual_lshlrev_b32 v17, 2, v4 :: v_dual_cndmask_b32 v5, v1, v5, vcc_lo
	ds_bpermute_b32 v4, v17, v0
	v_lshlrev_b32_e32 v20, 2, v5
	v_xor_b32_e32 v5, 4, v1
	s_delay_alu instid0(VALU_DEP_1) | instskip(SKIP_2) | instid1(VALU_DEP_1)
	v_cmp_gt_i32_e32 vcc_lo, 32, v5
	s_wait_dscnt 0x0
	v_max_num_f32_e32 v4, v4, v4
	v_max_num_f32_e32 v0, v0, v4
	ds_bpermute_b32 v4, v20, v0
	s_wait_dscnt 0x0
	v_dual_cndmask_b32 v5, v1, v5 :: v_dual_max_num_f32 v4, v4, v4
	s_delay_alu instid0(VALU_DEP_1) | instskip(SKIP_3) | instid1(VALU_DEP_1)
	v_dual_max_num_f32 v0, v0, v4 :: v_dual_lshlrev_b32 v21, 2, v5
	ds_bpermute_b32 v4, v21, v0
	s_wait_dscnt 0x0
	v_dual_max_num_f32 v4, v4, v4 :: v_dual_bitop2_b32 v5, 2, v1 bitop3:0x14
	v_cmp_gt_i32_e32 vcc_lo, 32, v5
	s_delay_alu instid0(VALU_DEP_2) | instskip(NEXT) | instid1(VALU_DEP_1)
	v_dual_max_num_f32 v0, v0, v4 :: v_dual_cndmask_b32 v5, v1, v5
	v_lshlrev_b32_e32 v22, 2, v5
	v_xor_b32_e32 v5, 1, v1
	s_delay_alu instid0(VALU_DEP_1) | instskip(SKIP_4) | instid1(VALU_DEP_1)
	v_cmp_gt_i32_e32 vcc_lo, 32, v5
	v_cndmask_b32_e32 v1, v1, v5, vcc_lo
	ds_bpermute_b32 v4, v22, v0
	s_wait_dscnt 0x0
	v_dual_max_num_f32 v4, v4, v4 :: v_dual_lshlrev_b32 v23, 2, v1
	v_max_num_f32_e32 v0, v0, v4
	ds_bpermute_b32 v1, v23, v0
	s_wait_dscnt 0x0
	v_max_num_f32_e32 v1, v1, v1
	s_delay_alu instid0(VALU_DEP_1) | instskip(NEXT) | instid1(VALU_DEP_1)
	v_max_num_f32_e32 v0, v0, v1
	v_sub_f32_e32 v6, v13, v0
	s_delay_alu instid0(VALU_DEP_1) | instskip(SKIP_2) | instid1(VALU_DEP_3)
	v_dual_mul_f32 v27, 0x3fb8aa3b, v6 :: v_dual_sub_f32 v24, v18, v0
	v_dual_sub_f32 v25, v19, v0 :: v_dual_sub_f32 v1, v10, v0
	v_sub_f32_e32 v4, v11, v0
	v_rndne_f32_e32 v41, v27
	s_delay_alu instid0(VALU_DEP_4)
	v_mul_f32_e32 v32, 0x3fb8aa3b, v24
	v_sub_f32_e32 v9, v15, v0
	v_fma_f32 v40, 0x3fb8aa3b, v6, -v27
	v_cmp_ngt_f32_e32 vcc_lo, 0xc2ce8ed0, v1
	v_sub_f32_e32 v27, v27, v41
	v_fma_f32 v46, 0x3fb8aa3b, v24, -v32
	v_rndne_f32_e32 v47, v32
	v_dual_sub_f32 v5, v12, v0 :: v_dual_sub_f32 v7, v14, v0
	v_dual_mul_f32 v8, 0x3fb8aa3b, v4 :: v_dual_mul_f32 v29, 0x3fb8aa3b, v9
	s_delay_alu instid0(VALU_DEP_4) | instskip(NEXT) | instid1(VALU_DEP_4)
	v_fmac_f32_e32 v46, 0x32a5705f, v24
	v_sub_f32_e32 v32, v32, v47
	s_delay_alu instid0(VALU_DEP_4) | instskip(SKIP_2) | instid1(VALU_DEP_4)
	v_dual_mul_f32 v28, 0x3fb8aa3b, v7 :: v_dual_mul_f32 v33, 0x3fb8aa3b, v25
	v_cvt_i32_f32_e32 v47, v47
	v_fma_f32 v36, 0x3fb8aa3b, v4, -v8
	v_add_f32_e32 v32, v32, v46
	v_fma_f32 v44, 0x3fb8aa3b, v9, -v29
	v_fma_f32 v48, 0x3fb8aa3b, v25, -v33
	v_rndne_f32_e32 v49, v33
	v_fmac_f32_e32 v36, 0x32a5705f, v4
	v_exp_f32_e32 v32, v32
	v_rndne_f32_e32 v45, v29
	v_fmac_f32_e32 v48, 0x32a5705f, v25
	v_sub_f32_e32 v33, v33, v49
	v_fmac_f32_e32 v44, 0x32a5705f, v9
	v_rndne_f32_e32 v37, v8
	v_fma_f32 v42, 0x3fb8aa3b, v7, -v28
	v_ldexp_f32 v32, v32, v47
	v_fmac_f32_e32 v40, 0x32a5705f, v6
	v_mul_f32_e32 v0, 0x3fb8aa3b, v1
	v_rndne_f32_e32 v43, v28
	v_add_f32_e32 v33, v33, v48
	s_delay_alu instid0(VALU_DEP_4) | instskip(NEXT) | instid1(VALU_DEP_4)
	v_dual_sub_f32 v29, v29, v45 :: v_dual_add_f32 v27, v27, v40
	v_fma_f32 v34, 0x3fb8aa3b, v1, -v0
	v_rndne_f32_e32 v35, v0
	s_delay_alu instid0(VALU_DEP_3) | instskip(SKIP_1) | instid1(VALU_DEP_3)
	v_dual_mul_f32 v26, 0x3fb8aa3b, v5 :: v_dual_add_f32 v29, v29, v44
	v_exp_f32_e32 v33, v33
	v_fmac_f32_e32 v34, 0x32a5705f, v1
	s_delay_alu instid0(VALU_DEP_3) | instskip(NEXT) | instid1(VALU_DEP_3)
	v_sub_f32_e32 v0, v0, v35
	v_rndne_f32_e32 v39, v26
	v_cvt_i32_f32_e32 v49, v49
	v_fma_f32 v38, 0x3fb8aa3b, v5, -v26
	v_sub_f32_e32 v8, v8, v37
	v_cvt_i32_f32_e32 v37, v37
	v_sub_f32_e32 v26, v26, v39
	v_sub_f32_e32 v28, v28, v43
	v_ldexp_f32 v33, v33, v49
	v_fmac_f32_e32 v42, 0x32a5705f, v7
	v_cvt_i32_f32_e32 v43, v43
	v_cvt_i32_f32_e32 v39, v39
	v_cvt_i32_f32_e32 v35, v35
	v_exp_f32_e32 v27, v27
	v_add_f32_e32 v28, v28, v42
	v_cvt_i32_f32_e32 v41, v41
	v_exp_f32_e32 v29, v29
	v_cvt_i32_f32_e32 v45, v45
	s_delay_alu instid0(VALU_DEP_3)
	v_exp_f32_e32 v28, v28
	s_delay_alu instid0(TRANS32_DEP_3) | instid1(VALU_DEP_2)
	v_ldexp_f32 v27, v27, v41
	s_delay_alu instid0(TRANS32_DEP_2) | instid1(VALU_DEP_2)
	v_ldexp_f32 v29, v29, v45
	s_delay_alu instid0(TRANS32_DEP_1) | instskip(SKIP_1) | instid1(VALU_DEP_1)
	v_ldexp_f32 v28, v28, v43
	v_fmac_f32_e32 v38, 0x32a5705f, v5
	v_add_f32_e32 v26, v26, v38
	s_delay_alu instid0(VALU_DEP_1) | instskip(SKIP_1) | instid1(TRANS32_DEP_1)
	v_exp_f32_e32 v26, v26
	v_nop
	v_ldexp_f32 v26, v26, v39
	v_add_f32_e32 v8, v8, v36
	s_delay_alu instid0(VALU_DEP_1) | instskip(SKIP_1) | instid1(TRANS32_DEP_1)
	v_exp_f32_e32 v8, v8
	v_nop
	v_ldexp_f32 v8, v8, v37
	;; [unrolled: 5-line block ×3, first 2 shown]
	s_delay_alu instid0(VALU_DEP_1)
	v_cndmask_b32_e32 v0, 0, v0, vcc_lo
	v_cmp_ngt_f32_e32 vcc_lo, 0xc2ce8ed0, v4
	v_cndmask_b32_e32 v8, 0, v8, vcc_lo
	v_cmp_ngt_f32_e32 vcc_lo, 0xc2ce8ed0, v5
	v_cndmask_b32_e32 v26, 0, v26, vcc_lo
	v_cmp_nlt_f32_e32 vcc_lo, 0x42b17218, v1
	v_cndmask_b32_e32 v0, 0x7f800000, v0, vcc_lo
	v_cmp_nlt_f32_e32 vcc_lo, 0x42b17218, v4
	v_cndmask_b32_e32 v1, 0x7f800000, v8, vcc_lo
	v_cmp_ngt_f32_e32 vcc_lo, 0xc2ce8ed0, v6
	v_cndmask_b32_e32 v8, 0, v27, vcc_lo
	v_cmp_nlt_f32_e32 vcc_lo, 0x42b17218, v5
	v_cndmask_b32_e32 v4, 0x7f800000, v26, vcc_lo
	v_cmp_ngt_f32_e32 vcc_lo, 0xc2ce8ed0, v7
	v_cndmask_b32_e32 v27, 0, v28, vcc_lo
	v_cmp_nlt_f32_e32 vcc_lo, 0x42b17218, v6
	v_dual_add_f32 v26, v0, v1 :: v_dual_cndmask_b32 v5, 0x7f800000, v8
	v_cmp_ngt_f32_e32 vcc_lo, 0xc2ce8ed0, v9
	s_delay_alu instid0(VALU_DEP_2)
	v_dual_add_f32 v6, v4, v26 :: v_dual_cndmask_b32 v26, 0, v29, vcc_lo
	v_cmp_nlt_f32_e32 vcc_lo, 0x42b17218, v7
	v_cndmask_b32_e32 v8, 0x7f800000, v27, vcc_lo
	v_cmp_ngt_f32_e32 vcc_lo, 0xc2ce8ed0, v24
	v_cndmask_b32_e32 v7, 0, v32, vcc_lo
	v_cmp_nlt_f32_e32 vcc_lo, 0x42b17218, v9
	v_cndmask_b32_e32 v9, 0x7f800000, v26, vcc_lo
	v_cmp_ngt_f32_e32 vcc_lo, 0xc2ce8ed0, v25
	v_dual_cndmask_b32 v27, 0, v33 :: v_dual_add_f32 v6, v5, v6
	v_cmp_nlt_f32_e32 vcc_lo, 0x42b17218, v24
	s_delay_alu instid0(VALU_DEP_2) | instskip(SKIP_2) | instid1(VALU_DEP_3)
	v_add_f32_e32 v26, v8, v6
	v_cndmask_b32_e32 v6, 0x7f800000, v7, vcc_lo
	v_cmp_nlt_f32_e32 vcc_lo, 0x42b17218, v25
	v_dual_add_f32 v24, v9, v26 :: v_dual_cndmask_b32 v7, 0x7f800000, v27
	s_delay_alu instid0(VALU_DEP_1) | instskip(NEXT) | instid1(VALU_DEP_1)
	v_add_f32_e32 v24, v6, v24
	v_add_f32_e32 v24, v7, v24
	ds_bpermute_b32 v17, v17, v24
	s_wait_dscnt 0x0
	v_add_f32_e32 v17, v24, v17
	ds_bpermute_b32 v20, v20, v17
	s_wait_dscnt 0x0
	;; [unrolled: 3-line block ×5, first 2 shown]
	v_add_f32_e32 v17, v17, v20
	s_delay_alu instid0(VALU_DEP_1) | instskip(SKIP_1) | instid1(VALU_DEP_2)
	v_div_scale_f32 v20, null, v17, v17, 1.0
	v_div_scale_f32 v23, vcc_lo, 1.0, v17, 1.0
	v_rcp_f32_e32 v21, v20
	v_nop
	s_delay_alu instid0(TRANS32_DEP_1) | instskip(NEXT) | instid1(VALU_DEP_1)
	v_fma_f32 v22, -v20, v21, 1.0
	v_fmac_f32_e32 v21, v22, v21
	s_delay_alu instid0(VALU_DEP_1) | instskip(NEXT) | instid1(VALU_DEP_1)
	v_mul_f32_e32 v22, v23, v21
	v_fma_f32 v24, -v20, v22, v23
	s_delay_alu instid0(VALU_DEP_1) | instskip(NEXT) | instid1(VALU_DEP_1)
	v_fmac_f32_e32 v22, v24, v21
	v_fma_f32 v20, -v20, v22, v23
	s_delay_alu instid0(VALU_DEP_1) | instskip(NEXT) | instid1(VALU_DEP_1)
	v_div_fmas_f32 v20, v20, v21, v22
	v_div_fixup_f32 v20, v20, v17, 1.0
	s_delay_alu instid0(VALU_DEP_1)
	v_pk_mul_f32 v[6:7], v[6:7], v[20:21] op_sel_hi:[1,0]
	v_pk_mul_f32 v[8:9], v[8:9], v[20:21] op_sel_hi:[1,0]
	;; [unrolled: 1-line block ×4, first 2 shown]
	s_and_not1_b32 vcc_lo, exec_lo, s1
	s_cbranch_vccz .LBB8_5
	s_branch .LBB8_6
.LBB8_4:
                                        ; implicit-def: $vgpr7
                                        ; implicit-def: $vgpr9
                                        ; implicit-def: $vgpr5
                                        ; implicit-def: $vgpr1
.LBB8_5:
	s_wait_loadcnt 0x6
	v_dual_mul_f32 v0, 0xbfb8aa3b, v10 :: v_dual_mul_f32 v1, 0xbfb8aa3b, v11
	s_wait_loadcnt 0x4
	s_wait_xcnt 0x0
	v_dual_mul_f32 v4, 0xbfb8aa3b, v12 :: v_dual_mul_f32 v5, 0xbfb8aa3b, v13
	v_cmp_nlt_f32_e32 vcc_lo, 0x42ce8ed0, v10
	v_rndne_f32_e32 v6, v0
	v_fma_f32 v7, 0xbfb8aa3b, v10, -v0
	v_rndne_f32_e32 v8, v1
	v_rndne_f32_e32 v20, v4
	v_fma_f32 v9, 0xbfb8aa3b, v11, -v1
	v_sub_f32_e32 v0, v0, v6
	v_fmac_f32_e32 v7, 0xb2a5705f, v10
	v_sub_f32_e32 v1, v1, v8
	v_fma_f32 v21, 0xbfb8aa3b, v12, -v4
	s_wait_loadcnt 0x3
	v_dual_sub_f32 v4, v4, v20 :: v_dual_mul_f32 v17, 0xbfb8aa3b, v14
	v_add_f32_e32 v0, v0, v7
	v_cvt_i32_f32_e32 v6, v6
	v_cvt_i32_f32_e32 v8, v8
	v_rndne_f32_e32 v7, v5
	v_cvt_i32_f32_e32 v20, v20
	v_exp_f32_e32 v0, v0
	s_wait_loadcnt 0x1
	v_cmp_ngt_f32_e64 s2, 0xc2b17218, v18
	s_delay_alu instid0(TRANS32_DEP_1) | instskip(SKIP_2) | instid1(VALU_DEP_3)
	v_ldexp_f32 v0, v0, v6
	v_rndne_f32_e32 v6, v17
	v_fmac_f32_e32 v21, 0xb2a5705f, v12
	v_dual_fmac_f32 v9, 0xb2a5705f, v11 :: v_dual_cndmask_b32 v0, 0, v0
	v_cmp_nlt_f32_e32 vcc_lo, 0x42ce8ed0, v11
	s_delay_alu instid0(VALU_DEP_3) | instskip(NEXT) | instid1(VALU_DEP_3)
	v_add_f32_e32 v4, v4, v21
	v_add_f32_e32 v1, v1, v9
	v_fma_f32 v9, 0xbfb8aa3b, v13, -v5
	s_delay_alu instid0(VALU_DEP_3) | instskip(NEXT) | instid1(VALU_DEP_2)
	v_exp_f32_e32 v4, v4
	v_exp_f32_e32 v1, v1
	s_delay_alu instid0(TRANS32_DEP_2) | instskip(NEXT) | instid1(TRANS32_DEP_1)
	v_ldexp_f32 v4, v4, v20
	v_ldexp_f32 v1, v1, v8
	v_sub_f32_e32 v5, v5, v7
	v_fma_f32 v8, 0xbfb8aa3b, v14, -v17
	v_cvt_i32_f32_e32 v7, v7
	s_delay_alu instid0(VALU_DEP_4)
	v_cndmask_b32_e32 v1, 0, v1, vcc_lo
	v_cmp_ngt_f32_e32 vcc_lo, 0xc2b17218, v10
	v_sub_f32_e32 v10, v17, v6
	v_fmac_f32_e32 v8, 0xb2a5705f, v14
	v_cvt_i32_f32_e32 v6, v6
	v_cndmask_b32_e32 v0, 0x7f800000, v0, vcc_lo
	v_cmp_ngt_f32_e32 vcc_lo, 0xc2b17218, v11
	s_delay_alu instid0(VALU_DEP_4) | instskip(SKIP_2) | instid1(VALU_DEP_1)
	v_dual_add_f32 v8, v10, v8 :: v_dual_cndmask_b32 v1, 0x7f800000, v1
	v_cmp_nlt_f32_e32 vcc_lo, 0x42ce8ed0, v12
	v_dual_fmac_f32 v9, 0xb2a5705f, v13 :: v_dual_cndmask_b32 v4, 0, v4
	v_add_f32_e32 v5, v5, v9
	v_mul_f32_e32 v9, 0xbfb8aa3b, v15
	v_cmp_ngt_f32_e32 vcc_lo, 0xc2b17218, v12
	v_pk_add_f32 v[0:1], v[0:1], 1.0 op_sel_hi:[1,0]
	s_delay_alu instid0(VALU_DEP_4) | instskip(NEXT) | instid1(VALU_DEP_1)
	v_exp_f32_e32 v5, v5
	v_div_scale_f32 v22, s1, 1.0, v1, 1.0
	s_delay_alu instid0(TRANS32_DEP_1)
	v_ldexp_f32 v5, v5, v7
	v_exp_f32_e32 v7, v8
	v_nop
	v_mul_f32_e32 v8, 0xbfb8aa3b, v18
	v_rndne_f32_e32 v11, v9
	v_fma_f32 v17, 0xbfb8aa3b, v15, -v9
	s_delay_alu instid0(VALU_DEP_3) | instskip(NEXT) | instid1(VALU_DEP_3)
	v_rndne_f32_e32 v10, v8
	v_sub_f32_e32 v9, v9, v11
	s_delay_alu instid0(VALU_DEP_3) | instskip(SKIP_3) | instid1(VALU_DEP_4)
	v_fmac_f32_e32 v17, 0xb2a5705f, v15
	v_fma_f32 v12, 0xbfb8aa3b, v18, -v8
	v_ldexp_f32 v6, v7, v6
	v_sub_f32_e32 v8, v8, v10
	v_dual_cndmask_b32 v4, 0x7f800000, v4 :: v_dual_add_f32 v9, v9, v17
	v_cmp_nlt_f32_e32 vcc_lo, 0x42ce8ed0, v13
	v_fmac_f32_e32 v12, 0xb2a5705f, v18
	v_cvt_i32_f32_e32 v10, v10
	s_delay_alu instid0(VALU_DEP_4)
	v_exp_f32_e32 v7, v9
	v_cndmask_b32_e32 v5, 0, v5, vcc_lo
	v_cmp_nlt_f32_e32 vcc_lo, 0x42ce8ed0, v14
	v_add_f32_e32 v8, v8, v12
	v_cvt_i32_f32_e32 v9, v11
	v_cndmask_b32_e32 v6, 0, v6, vcc_lo
	s_delay_alu instid0(VALU_DEP_3) | instskip(SKIP_1) | instid1(VALU_DEP_3)
	v_exp_f32_e32 v8, v8
	v_cmp_ngt_f32_e32 vcc_lo, 0xc2b17218, v13
	v_ldexp_f32 v7, v7, v9
	v_div_scale_f32 v13, null, v0, v0, 1.0
	v_cndmask_b32_e32 v5, 0x7f800000, v5, vcc_lo
	v_cmp_ngt_f32_e32 vcc_lo, 0xc2b17218, v14
	s_delay_alu instid0(TRANS32_DEP_1) | instskip(SKIP_3) | instid1(VALU_DEP_1)
	v_ldexp_f32 v8, v8, v10
	s_wait_loadcnt 0x0
	v_mul_f32_e32 v9, 0xbfb8aa3b, v19
	v_rcp_f32_e32 v14, v13
	v_rndne_f32_e32 v11, v9
	v_cndmask_b32_e32 v6, 0x7f800000, v6, vcc_lo
	v_cmp_nlt_f32_e32 vcc_lo, 0x42ce8ed0, v15
	s_delay_alu instid0(TRANS32_DEP_1) | instskip(SKIP_3) | instid1(VALU_DEP_4)
	v_fma_f32 v10, -v13, v14, 1.0
	v_cndmask_b32_e32 v7, 0, v7, vcc_lo
	v_cmp_ngt_f32_e32 vcc_lo, 0xc2b17218, v15
	v_div_scale_f32 v15, null, v1, v1, 1.0
	v_fmac_f32_e32 v14, v10, v14
	v_pk_add_f32 v[4:5], v[4:5], 1.0 op_sel_hi:[1,0]
	v_cndmask_b32_e32 v7, 0x7f800000, v7, vcc_lo
	v_cmp_nlt_f32_e32 vcc_lo, 0x42ce8ed0, v18
	s_delay_alu instid0(VALU_DEP_3)
	v_div_scale_f32 v20, null, v4, v4, 1.0
	v_cndmask_b32_e32 v8, 0, v8, vcc_lo
	v_fma_f32 v12, 0xbfb8aa3b, v19, -v9
	v_sub_f32_e32 v9, v9, v11
	v_div_scale_f32 v17, vcc_lo, 1.0, v0, 1.0
	v_cvt_i32_f32_e32 v11, v11
	s_delay_alu instid0(VALU_DEP_4) | instskip(SKIP_1) | instid1(VALU_DEP_3)
	v_fmac_f32_e32 v12, 0xb2a5705f, v19
	v_rcp_f32_e32 v23, v20
	v_mul_f32_e32 v21, v17, v14
	v_cndmask_b32_e64 v8, 0x7f800000, v8, s2
	v_cmp_nlt_f32_e64 s2, 0x42ce8ed0, v19
	v_add_f32_e32 v9, v9, v12
	v_rcp_f32_e32 v12, v15
	s_delay_alu instid0(VALU_DEP_1) | instskip(NEXT) | instid1(TRANS32_DEP_2)
	v_exp_f32_e32 v9, v9
	v_fma_f32 v10, -v15, v12, 1.0
	s_delay_alu instid0(TRANS32_DEP_1) | instskip(NEXT) | instid1(VALU_DEP_2)
	v_ldexp_f32 v9, v9, v11
	v_fmac_f32_e32 v12, v10, v12
	v_fma_f32 v11, -v20, v23, 1.0
	v_pk_add_f32 v[6:7], v[6:7], 1.0 op_sel_hi:[1,0]
	s_delay_alu instid0(VALU_DEP_3) | instskip(SKIP_3) | instid1(VALU_DEP_4)
	v_dual_cndmask_b32 v9, 0, v9, s2 :: v_dual_mul_f32 v18, v22, v12
	v_fma_f32 v10, -v13, v21, v17
	v_cmp_ngt_f32_e64 s2, 0xc2b17218, v19
	v_fmac_f32_e32 v23, v11, v23
	v_fma_f32 v19, -v15, v18, v22
	s_delay_alu instid0(VALU_DEP_4) | instskip(NEXT) | instid1(VALU_DEP_4)
	v_fmac_f32_e32 v21, v10, v14
	v_cndmask_b32_e64 v9, 0x7f800000, v9, s2
	v_div_scale_f32 v24, s2, 1.0, v4, 1.0
	s_delay_alu instid0(VALU_DEP_4) | instskip(NEXT) | instid1(VALU_DEP_3)
	v_fmac_f32_e32 v18, v19, v12
	v_pk_add_f32 v[10:11], v[8:9], 1.0 op_sel_hi:[1,0]
	s_delay_alu instid0(VALU_DEP_3) | instskip(NEXT) | instid1(VALU_DEP_3)
	v_dual_fma_f32 v8, -v13, v21, v17 :: v_dual_mul_f32 v9, v24, v23
	v_fma_f32 v13, -v15, v18, v22
	s_delay_alu instid0(VALU_DEP_3) | instskip(NEXT) | instid1(VALU_DEP_3)
	v_div_scale_f32 v19, null, v10, v10, 1.0
	v_div_fmas_f32 v8, v8, v14, v21
	v_div_scale_f32 v14, null, v5, v5, 1.0
	v_fma_f32 v15, -v20, v9, v24
	s_mov_b32 vcc_lo, s1
	v_div_scale_f32 v21, s1, 1.0, v6, 1.0
	v_div_fmas_f32 v12, v13, v12, v18
	v_rcp_f32_e32 v13, v14
	v_fmac_f32_e32 v9, v15, v23
	v_div_scale_f32 v15, null, v6, v6, 1.0
	s_delay_alu instid0(VALU_DEP_3) | instskip(SKIP_1) | instid1(VALU_DEP_3)
	v_div_fixup_f32 v1, v12, v1, 1.0
	v_div_scale_f32 v18, null, v7, v7, 1.0
	v_rcp_f32_e32 v17, v15
	s_delay_alu instid0(TRANS32_DEP_2) | instskip(SKIP_3) | instid1(VALU_DEP_3)
	v_fma_f32 v12, -v14, v13, 1.0
	v_div_fixup_f32 v0, v8, v0, 1.0
	s_mov_b32 vcc_lo, s2
	v_div_scale_f32 v22, null, v11, v11, 1.0
	v_fmac_f32_e32 v13, v12, v13
	s_delay_alu instid0(TRANS32_DEP_1) | instskip(NEXT) | instid1(VALU_DEP_3)
	v_fma_f32 v12, -v15, v17, 1.0
	v_rcp_f32_e32 v27, v22
	s_delay_alu instid0(VALU_DEP_1) | instskip(SKIP_1) | instid1(TRANS32_DEP_2)
	v_fmac_f32_e32 v17, v12, v17
	v_rcp_f32_e32 v12, v19
	v_fma_f32 v28, -v22, v27, 1.0
	s_delay_alu instid0(VALU_DEP_2) | instskip(SKIP_2) | instid1(TRANS32_DEP_2)
	v_mul_f32_e32 v25, v21, v17
	v_fma_f32 v8, -v20, v9, v24
	v_rcp_f32_e32 v20, v18
	v_fma_f32 v26, -v19, v12, 1.0
	v_fmac_f32_e32 v27, v28, v27
	v_div_scale_f32 v28, s4, 1.0, v11, 1.0
	v_div_fmas_f32 v8, v8, v23, v9
	v_div_scale_f32 v9, vcc_lo, 1.0, v5, 1.0
	s_delay_alu instid0(TRANS32_DEP_1) | instskip(SKIP_1) | instid1(VALU_DEP_4)
	v_fma_f32 v23, -v18, v20, 1.0
	v_fmac_f32_e32 v12, v26, v12
	v_div_fixup_f32 v4, v8, v4, 1.0
	v_div_scale_f32 v26, s3, 1.0, v10, 1.0
	s_delay_alu instid0(VALU_DEP_4) | instskip(SKIP_1) | instid1(VALU_DEP_3)
	v_dual_fmac_f32 v20, v23, v20 :: v_dual_mul_f32 v8, v9, v13
	v_div_scale_f32 v23, s2, 1.0, v7, 1.0
	v_dual_mul_f32 v32, v26, v12 :: v_dual_mul_f32 v33, v28, v27
	s_delay_alu instid0(VALU_DEP_3) | instskip(NEXT) | instid1(VALU_DEP_1)
	v_fma_f32 v24, -v14, v8, v9
	v_dual_mul_f32 v29, v23, v20 :: v_dual_fmac_f32 v8, v24, v13
	v_fma_f32 v24, -v15, v25, v21
	s_delay_alu instid0(VALU_DEP_2) | instskip(NEXT) | instid1(VALU_DEP_2)
	v_fma_f32 v9, -v14, v8, v9
	v_dual_fmac_f32 v25, v24, v17 :: v_dual_fma_f32 v24, -v19, v32, v26
	s_delay_alu instid0(VALU_DEP_4) | instskip(NEXT) | instid1(VALU_DEP_3)
	v_fma_f32 v14, -v18, v29, v23
	v_div_fmas_f32 v8, v9, v13, v8
	v_fma_f32 v13, -v22, v33, v28
	s_delay_alu instid0(VALU_DEP_4) | instskip(NEXT) | instid1(VALU_DEP_4)
	v_fmac_f32_e32 v32, v24, v12
	v_fmac_f32_e32 v29, v14, v20
	v_fma_f32 v9, -v15, v25, v21
	s_mov_b32 vcc_lo, s1
	s_delay_alu instid0(VALU_DEP_3) | instskip(NEXT) | instid1(VALU_DEP_3)
	v_dual_fmac_f32 v33, v13, v27 :: v_dual_fma_f32 v13, -v19, v32, v26
	v_fma_f32 v14, -v18, v29, v23
	s_delay_alu instid0(VALU_DEP_3) | instskip(SKIP_1) | instid1(VALU_DEP_3)
	v_div_fmas_f32 v9, v9, v17, v25
	s_mov_b32 vcc_lo, s2
	v_fma_f32 v15, -v22, v33, v28
	v_div_fixup_f32 v5, v8, v5, 1.0
	v_div_fmas_f32 v14, v14, v20, v29
	s_mov_b32 vcc_lo, s3
	v_div_fixup_f32 v8, v9, v6, 1.0
	v_div_fmas_f32 v12, v13, v12, v32
	s_mov_b32 vcc_lo, s4
	v_div_fixup_f32 v9, v14, v7, 1.0
	v_div_fmas_f32 v13, v15, v27, v33
	s_delay_alu instid0(VALU_DEP_3) | instskip(NEXT) | instid1(VALU_DEP_2)
	v_div_fixup_f32 v6, v12, v10, 1.0
	v_div_fixup_f32 v7, v13, v11, 1.0
.LBB8_6:
	s_wait_loadcnt 0x6
	v_dual_mov_b32 v10, v0 :: v_dual_mov_b32 v11, v1
	s_wait_loadcnt 0x4
	v_dual_mov_b32 v12, v4 :: v_dual_mov_b32 v13, v5
	;; [unrolled: 2-line block ×4, first 2 shown]
.LBB8_7:
	s_lshr_b32 s1, s5, 8
	s_cmp_gt_i32 s17, 0
	s_mov_b32 s2, 0
	s_cbranch_scc1 .LBB8_9
; %bb.8:
	s_bitcmp1_b32 s1, 0
	s_cselect_b32 s6, -1, 0
	s_branch .LBB8_10
.LBB8_9:
	s_mov_b32 s2, -1
                                        ; implicit-def: $sgpr6
.LBB8_10:
	v_dual_add_nc_u32 v38, 32, v31 :: v_dual_add_nc_u32 v37, 64, v31
	v_add_nc_u32_e32 v36, 0x60, v31
	v_add_nc_u32_e32 v35, 0x80, v31
	;; [unrolled: 1-line block ×5, first 2 shown]
	v_mbcnt_lo_u32_b32 v17, -1, 0
	s_and_not1_b32 vcc_lo, exec_lo, s2
	s_mov_b32 s5, 0
	s_cbranch_vccnz .LBB8_37
; %bb.11:
	s_clause 0x7
	global_load_b32 v26, v31, s[14:15] offset:256 scale_offset
	global_load_b32 v27, v31, s[14:15] offset:384 scale_offset
	;; [unrolled: 1-line block ×6, first 2 shown]
	global_load_b32 v28, v31, s[14:15] scale_offset
	global_load_b32 v29, v31, s[14:15] offset:128 scale_offset
	s_wait_loadcnt 0xf
	v_cmp_o_f32_e32 vcc_lo, v10, v10
	v_dual_mov_b32 v8, 0 :: v_dual_bitop2_b32 v1, 16, v17 bitop3:0x14
	v_lshl_add_u64 v[20:21], v[2:3], 2, s[12:13]
	v_xor_b32_e32 v3, 4, v17
	v_cndmask_b32_e32 v10, 0xff7fffff, v10, vcc_lo
	s_wait_loadcnt 0xe
	v_cmp_o_f32_e32 vcc_lo, v11, v11
	v_xor_b32_e32 v2, 8, v17
	s_bitcmp1_b32 s1, 0
	v_mov_b32_e32 v0, 0
	s_cselect_b32 s6, -1, 0
	v_cndmask_b32_e32 v11, 0xff7fffff, v11, vcc_lo
	s_wait_loadcnt 0xd
	v_cmp_o_f32_e32 vcc_lo, v12, v12
	v_mov_b32_e32 v6, v8
	v_cndmask_b32_e32 v12, 0xff7fffff, v12, vcc_lo
	s_wait_loadcnt 0xc
	v_cmp_o_f32_e32 vcc_lo, v13, v13
	v_cndmask_b32_e32 v13, 0xff7fffff, v13, vcc_lo
	s_wait_loadcnt 0xb
	v_cmp_o_f32_e32 vcc_lo, v14, v14
	;; [unrolled: 3-line block ×5, first 2 shown]
	v_cndmask_b32_e32 v19, 0xff7fffff, v19, vcc_lo
	v_cmp_gt_i32_e32 vcc_lo, 32, v1
	v_cndmask_b32_e32 v7, v17, v1, vcc_lo
	v_cmp_gt_i32_e32 vcc_lo, 32, v2
	v_dual_mov_b32 v1, v8 :: v_dual_cndmask_b32 v39, v17, v2, vcc_lo
	v_xor_b32_e32 v4, 2, v17
	v_cmp_gt_i32_e32 vcc_lo, 32, v3
	s_delay_alu instid0(VALU_DEP_3) | instskip(SKIP_1) | instid1(VALU_DEP_4)
	v_dual_mov_b32 v2, v8 :: v_dual_lshlrev_b32 v39, 2, v39
	v_cndmask_b32_e32 v40, v17, v3, vcc_lo
	v_cmp_gt_i32_e32 vcc_lo, 32, v4
	v_dual_mov_b32 v3, v8 :: v_dual_bitop2_b32 v5, 1, v17 bitop3:0x14
	s_delay_alu instid0(VALU_DEP_3) | instskip(SKIP_1) | instid1(VALU_DEP_3)
	v_lshlrev_b32_e32 v40, 2, v40
	v_cndmask_b32_e32 v41, v17, v4, vcc_lo
	v_cmp_gt_i32_e32 vcc_lo, 32, v5
	v_dual_mov_b32 v4, v8 :: v_dual_lshlrev_b32 v9, 2, v7
	v_dual_mov_b32 v7, v8 :: v_dual_cndmask_b32 v42, v17, v5
	s_delay_alu instid0(VALU_DEP_4) | instskip(NEXT) | instid1(VALU_DEP_2)
	v_dual_mov_b32 v5, v8 :: v_dual_lshlrev_b32 v41, 2, v41
	v_lshlrev_b32_e32 v42, 2, v42
	s_wait_loadcnt 0x6
	v_pk_add_f32 v[26:27], v[12:13], v[26:27]
	s_wait_loadcnt 0x3
	v_pk_add_f32 v[22:23], v[18:19], v[22:23]
	;; [unrolled: 2-line block ×4, first 2 shown]
	s_branch .LBB8_13
.LBB8_12:                               ;   in Loop: Header=BB8_13 Depth=1
	s_wait_xcnt 0x0
	s_or_b32 exec_lo, exec_lo, s1
	s_wait_dscnt 0x0
	v_mov_b64_e32 v[50:51], v[6:7]
	v_mov_b64_e32 v[44:45], v[0:1]
	s_and_b32 s1, s5, 31
	s_lshr_b32 m0, s5, 5
	v_cmp_eq_u32_e32 vcc_lo, s1, v31
	v_add_nc_u64_e32 v[20:21], 4, v[20:21]
	v_mov_b64_e32 v[48:49], v[4:5]
	v_mov_b64_e32 v[46:47], v[2:3]
	v_movreld_b32_e32 v44, v43
	v_dual_cndmask_b32 v7, v7, v51 :: v_dual_cndmask_b32 v6, v6, v50
	s_delay_alu instid0(VALU_DEP_4) | instskip(NEXT) | instid1(VALU_DEP_4)
	v_dual_cndmask_b32 v5, v5, v49 :: v_dual_cndmask_b32 v4, v4, v48
	v_dual_cndmask_b32 v3, v3, v47 :: v_dual_cndmask_b32 v2, v2, v46
	;; [unrolled: 1-line block ×3, first 2 shown]
	s_add_co_i32 s5, s5, 1
	s_delay_alu instid0(SALU_CYCLE_1)
	s_cmp_eq_u32 s17, s5
	s_cbranch_scc1 .LBB8_38
.LBB8_13:                               ; =>This Inner Loop Header: Depth=1
	s_delay_alu instid0(VALU_DEP_1) | instskip(SKIP_1) | instid1(VALU_DEP_1)
	v_cmp_gt_f32_e32 vcc_lo, v29, v28
	v_dual_cndmask_b32 v43, v10, v11 :: v_dual_cndmask_b32 v44, v28, v29
	v_cmp_gt_f32_e64 s1, v26, v44
	s_delay_alu instid0(VALU_DEP_1) | instskip(NEXT) | instid1(VALU_DEP_1)
	v_dual_cndmask_b32 v43, v43, v12, s1 :: v_dual_cndmask_b32 v44, v44, v26, s1
	v_cmp_gt_f32_e64 s2, v27, v44
	s_delay_alu instid0(VALU_DEP_1) | instskip(NEXT) | instid1(VALU_DEP_1)
	v_dual_cndmask_b32 v43, v43, v13, s2 :: v_dual_cndmask_b32 v44, v44, v27, s2
	v_cmp_gt_f32_e64 s3, v24, v44
	s_delay_alu instid0(VALU_DEP_1) | instskip(NEXT) | instid1(VALU_DEP_1)
	v_dual_cndmask_b32 v43, v43, v14, s3 :: v_dual_cndmask_b32 v44, v44, v24, s3
	v_cmp_gt_f32_e64 s4, v25, v44
	s_delay_alu instid0(VALU_DEP_1) | instskip(NEXT) | instid1(VALU_DEP_1)
	v_dual_cndmask_b32 v45, v31, v38, vcc_lo :: v_dual_cndmask_b32 v44, v44, v25, s4
	v_dual_cndmask_b32 v43, v43, v15, s4 :: v_dual_cndmask_b32 v45, v45, v37, s1
	s_delay_alu instid0(VALU_DEP_2) | instskip(NEXT) | instid1(VALU_DEP_2)
	v_cmp_gt_f32_e32 vcc_lo, v22, v44
	v_dual_cndmask_b32 v45, v45, v36, s2 :: v_dual_cndmask_b32 v43, v43, v18, vcc_lo
	s_delay_alu instid0(VALU_DEP_1) | instskip(SKIP_1) | instid1(VALU_DEP_1)
	v_dual_cndmask_b32 v44, v44, v22, vcc_lo :: v_dual_cndmask_b32 v45, v45, v35, s3
	s_mov_b32 s3, exec_lo
	v_cmp_gt_f32_e64 s1, v23, v44
	s_delay_alu instid0(VALU_DEP_1) | instskip(NEXT) | instid1(VALU_DEP_1)
	v_dual_cndmask_b32 v46, v45, v34, s4 :: v_dual_cndmask_b32 v43, v43, v19, s1
	v_dual_cndmask_b32 v45, v44, v23, s1 :: v_dual_cndmask_b32 v44, v46, v33, vcc_lo
	ds_bpermute_b32 v48, v9, v43
	ds_bpermute_b32 v46, v9, v45
	v_cndmask_b32_e64 v44, v44, v32, s1
	ds_bpermute_b32 v47, v9, v44
	s_wait_dscnt 0x1
	v_cmp_lt_f32_e64 s2, v45, v46
	v_cmpx_nlt_f32_e32 v45, v46
	s_cbranch_execz .LBB8_15
; %bb.14:                               ;   in Loop: Header=BB8_13 Depth=1
	v_cmp_eq_f32_e32 vcc_lo, v45, v46
	s_wait_dscnt 0x0
	v_cmp_lt_i32_e64 s1, v47, v44
	s_and_not1_b32 s2, s2, exec_lo
	s_and_b32 s1, vcc_lo, s1
	s_delay_alu instid0(SALU_CYCLE_1) | instskip(NEXT) | instid1(SALU_CYCLE_1)
	s_and_b32 s1, s1, exec_lo
	s_or_b32 s2, s2, s1
.LBB8_15:                               ;   in Loop: Header=BB8_13 Depth=1
	s_or_b32 exec_lo, exec_lo, s3
	s_and_saveexec_b32 s1, s2
	s_cbranch_execz .LBB8_17
; %bb.16:                               ;   in Loop: Header=BB8_13 Depth=1
	v_dual_mov_b32 v45, v46 :: v_dual_mov_b32 v43, v48
	s_wait_dscnt 0x0
	v_mov_b32_e32 v44, v47
.LBB8_17:                               ;   in Loop: Header=BB8_13 Depth=1
	s_or_b32 exec_lo, exec_lo, s1
	ds_bpermute_b32 v48, v39, v45
	s_wait_dscnt 0x1
	ds_bpermute_b32 v47, v39, v43
	ds_bpermute_b32 v46, v39, v44
	s_mov_b32 s3, exec_lo
	s_wait_dscnt 0x2
	v_cmp_lt_f32_e64 s2, v45, v48
	v_cmpx_nlt_f32_e32 v45, v48
	s_cbranch_execz .LBB8_19
; %bb.18:                               ;   in Loop: Header=BB8_13 Depth=1
	v_cmp_eq_f32_e32 vcc_lo, v45, v48
	s_wait_dscnt 0x0
	v_cmp_lt_i32_e64 s1, v46, v44
	s_and_not1_b32 s2, s2, exec_lo
	s_and_b32 s1, vcc_lo, s1
	s_delay_alu instid0(SALU_CYCLE_1) | instskip(NEXT) | instid1(SALU_CYCLE_1)
	s_and_b32 s1, s1, exec_lo
	s_or_b32 s2, s2, s1
.LBB8_19:                               ;   in Loop: Header=BB8_13 Depth=1
	s_or_b32 exec_lo, exec_lo, s3
	s_and_saveexec_b32 s1, s2
	s_cbranch_execz .LBB8_21
; %bb.20:                               ;   in Loop: Header=BB8_13 Depth=1
	s_wait_dscnt 0x1
	v_dual_mov_b32 v45, v48 :: v_dual_mov_b32 v43, v47
	s_wait_dscnt 0x0
	v_mov_b32_e32 v44, v46
.LBB8_21:                               ;   in Loop: Header=BB8_13 Depth=1
	s_or_b32 exec_lo, exec_lo, s1
	ds_bpermute_b32 v48, v40, v45
	s_wait_dscnt 0x2
	ds_bpermute_b32 v47, v40, v43
	s_wait_dscnt 0x2
	ds_bpermute_b32 v46, v40, v44
	s_mov_b32 s3, exec_lo
	s_wait_dscnt 0x2
	v_cmp_lt_f32_e64 s2, v45, v48
	v_cmpx_nlt_f32_e32 v45, v48
	s_cbranch_execz .LBB8_23
; %bb.22:                               ;   in Loop: Header=BB8_13 Depth=1
	v_cmp_eq_f32_e32 vcc_lo, v45, v48
	s_wait_dscnt 0x0
	v_cmp_lt_i32_e64 s1, v46, v44
	s_and_not1_b32 s2, s2, exec_lo
	s_and_b32 s1, vcc_lo, s1
	s_delay_alu instid0(SALU_CYCLE_1) | instskip(NEXT) | instid1(SALU_CYCLE_1)
	s_and_b32 s1, s1, exec_lo
	s_or_b32 s2, s2, s1
.LBB8_23:                               ;   in Loop: Header=BB8_13 Depth=1
	s_or_b32 exec_lo, exec_lo, s3
	s_and_saveexec_b32 s1, s2
	s_cbranch_execz .LBB8_25
; %bb.24:                               ;   in Loop: Header=BB8_13 Depth=1
	s_wait_dscnt 0x1
	v_dual_mov_b32 v45, v48 :: v_dual_mov_b32 v43, v47
	s_wait_dscnt 0x0
	v_mov_b32_e32 v44, v46
.LBB8_25:                               ;   in Loop: Header=BB8_13 Depth=1
	s_or_b32 exec_lo, exec_lo, s1
	ds_bpermute_b32 v48, v41, v45
	s_wait_dscnt 0x2
	ds_bpermute_b32 v47, v41, v43
	s_wait_dscnt 0x2
	;; [unrolled: 30-line block ×3, first 2 shown]
	ds_bpermute_b32 v46, v42, v44
	s_mov_b32 s3, exec_lo
	s_wait_dscnt 0x2
	v_cmp_lt_f32_e64 s2, v45, v48
	v_cmpx_nlt_f32_e32 v45, v48
	s_cbranch_execz .LBB8_31
; %bb.30:                               ;   in Loop: Header=BB8_13 Depth=1
	v_cmp_eq_f32_e32 vcc_lo, v45, v48
	s_wait_dscnt 0x0
	v_cmp_lt_i32_e64 s1, v46, v44
	s_and_not1_b32 s2, s2, exec_lo
	s_and_b32 s1, vcc_lo, s1
	s_delay_alu instid0(SALU_CYCLE_1) | instskip(NEXT) | instid1(SALU_CYCLE_1)
	s_and_b32 s1, s1, exec_lo
	s_or_b32 s2, s2, s1
.LBB8_31:                               ;   in Loop: Header=BB8_13 Depth=1
	s_or_b32 exec_lo, exec_lo, s3
	s_and_saveexec_b32 s1, s2
	s_cbranch_execz .LBB8_33
; %bb.32:                               ;   in Loop: Header=BB8_13 Depth=1
	s_wait_dscnt 0x0
	v_dual_mov_b32 v43, v47 :: v_dual_mov_b32 v44, v46
.LBB8_33:                               ;   in Loop: Header=BB8_13 Depth=1
	s_or_b32 exec_lo, exec_lo, s1
	s_delay_alu instid0(VALU_DEP_1) | instskip(NEXT) | instid1(VALU_DEP_1)
	v_and_b32_e32 v45, 31, v44
	v_cmp_eq_u32_e32 vcc_lo, v45, v31
	s_and_saveexec_b32 s2, vcc_lo
	s_cbranch_execz .LBB8_35
; %bb.34:                               ;   in Loop: Header=BB8_13 Depth=1
	v_ashrrev_i32_e32 v45, 31, v44
	s_delay_alu instid0(VALU_DEP_1) | instskip(NEXT) | instid1(VALU_DEP_1)
	v_lshrrev_b32_e32 v45, 27, v45
	v_add_nc_u32_e32 v45, v44, v45
	s_delay_alu instid0(VALU_DEP_1) | instskip(NEXT) | instid1(VALU_DEP_1)
	v_ashrrev_i32_e32 v45, 5, v45
	v_cmp_ne_u32_e64 s1, 7, v45
	s_delay_alu instid0(VALU_DEP_1) | instskip(SKIP_1) | instid1(VALU_DEP_1)
	v_cndmask_b32_e64 v23, 0xff800000, v23, s1
	v_cmp_ne_u32_e64 s1, 6, v45
	v_cndmask_b32_e64 v22, 0xff800000, v22, s1
	v_cmp_ne_u32_e64 s1, 5, v45
	s_delay_alu instid0(VALU_DEP_1) | instskip(SKIP_1) | instid1(VALU_DEP_1)
	v_cndmask_b32_e64 v25, 0xff800000, v25, s1
	v_cmp_ne_u32_e64 s1, 4, v45
	v_cndmask_b32_e64 v24, 0xff800000, v24, s1
	;; [unrolled: 5-line block ×4, first 2 shown]
.LBB8_35:                               ;   in Loop: Header=BB8_13 Depth=1
	s_or_b32 exec_lo, exec_lo, s2
	s_and_saveexec_b32 s1, vcc_lo
	s_cbranch_execz .LBB8_12
; %bb.36:                               ;   in Loop: Header=BB8_13 Depth=1
	v_add_f32_e32 v45, v8, v43
	global_store_b32 v[20:21], v44, off
	v_cndmask_b32_e64 v8, v8, v45, s6
	s_branch .LBB8_12
.LBB8_37:
	v_mov_b32_e32 v8, 0
	s_wait_loadcnt 0x7
	s_delay_alu instid0(VALU_DEP_1)
	v_dual_mov_b32 v9, v8 :: v_dual_mov_b32 v10, v8
	s_wait_loadcnt 0x5
	v_dual_mov_b32 v11, v8 :: v_dual_mov_b32 v12, v8
	s_wait_loadcnt 0x3
	;; [unrolled: 2-line block ×3, first 2 shown]
	v_mov_b32_e32 v15, v8
	s_wait_xcnt 0x0
	v_mov_b64_e32 v[0:1], v[8:9]
	v_mov_b64_e32 v[2:3], v[10:11]
	;; [unrolled: 1-line block ×4, first 2 shown]
.LBB8_38:
	s_and_b32 vcc_lo, exec_lo, s6
	s_cbranch_vccz .LBB8_40
; %bb.39:
	v_xor_b32_e32 v10, 8, v17
	v_xor_b32_e32 v9, 16, v17
	s_delay_alu instid0(VALU_DEP_1) | instskip(SKIP_1) | instid1(VALU_DEP_4)
	v_cmp_gt_i32_e32 vcc_lo, 32, v9
	v_cndmask_b32_e32 v9, v17, v9, vcc_lo
	v_cmp_gt_i32_e32 vcc_lo, 32, v10
	v_cndmask_b32_e32 v10, v17, v10, vcc_lo
	s_delay_alu instid0(VALU_DEP_1)
	v_dual_lshlrev_b32 v10, 2, v10 :: v_dual_lshlrev_b32 v9, 2, v9
	ds_bpermute_b32 v9, v9, v8
	s_wait_dscnt 0x0
	v_add_f32_e32 v8, v8, v9
	ds_bpermute_b32 v9, v10, v8
	v_xor_b32_e32 v10, 4, v17
	s_delay_alu instid0(VALU_DEP_1) | instskip(SKIP_2) | instid1(VALU_DEP_1)
	v_cmp_gt_i32_e32 vcc_lo, 32, v10
	v_cndmask_b32_e32 v10, v17, v10, vcc_lo
	s_wait_dscnt 0x0
	v_dual_lshlrev_b32 v10, 2, v10 :: v_dual_add_f32 v8, v8, v9
	ds_bpermute_b32 v9, v10, v8
	v_xor_b32_e32 v10, 2, v17
	s_delay_alu instid0(VALU_DEP_1) | instskip(SKIP_2) | instid1(VALU_DEP_1)
	v_cmp_gt_i32_e32 vcc_lo, 32, v10
	v_cndmask_b32_e32 v10, v17, v10, vcc_lo
	s_wait_dscnt 0x0
	v_dual_lshlrev_b32 v10, 2, v10 :: v_dual_add_f32 v8, v8, v9
	ds_bpermute_b32 v9, v10, v8
	v_xor_b32_e32 v10, 1, v17
	s_delay_alu instid0(VALU_DEP_1) | instskip(SKIP_2) | instid1(VALU_DEP_1)
	v_cmp_gt_i32_e32 vcc_lo, 32, v10
	s_wait_dscnt 0x0
	v_dual_cndmask_b32 v10, v17, v10, vcc_lo :: v_dual_add_f32 v8, v8, v9
	v_lshlrev_b32_e32 v10, 2, v10
	ds_bpermute_b32 v9, v10, v8
	v_max_num_f32_e64 v10, s18, s18
	s_wait_dscnt 0x0
	v_add_f32_e32 v8, v8, v9
	s_delay_alu instid0(VALU_DEP_1) | instskip(NEXT) | instid1(VALU_DEP_1)
	v_max_num_f32_e32 v8, v8, v10
	v_div_scale_f32 v9, null, v8, v8, 1.0
	s_delay_alu instid0(VALU_DEP_1) | instskip(SKIP_1) | instid1(TRANS32_DEP_1)
	v_rcp_f32_e32 v10, v9
	v_nop
	v_fma_f32 v11, -v9, v10, 1.0
	s_delay_alu instid0(VALU_DEP_1) | instskip(SKIP_1) | instid1(VALU_DEP_1)
	v_fmac_f32_e32 v10, v11, v10
	v_div_scale_f32 v12, vcc_lo, 1.0, v8, 1.0
	v_mul_f32_e32 v11, v12, v10
	s_delay_alu instid0(VALU_DEP_1) | instskip(NEXT) | instid1(VALU_DEP_1)
	v_fma_f32 v13, -v9, v11, v12
	v_fmac_f32_e32 v11, v13, v10
	s_delay_alu instid0(VALU_DEP_1) | instskip(NEXT) | instid1(VALU_DEP_1)
	v_fma_f32 v9, -v9, v11, v12
	v_div_fmas_f32 v9, v9, v10, v11
	s_delay_alu instid0(VALU_DEP_1) | instskip(NEXT) | instid1(VALU_DEP_1)
	v_div_fixup_f32 v8, v9, v8, 1.0
	v_pk_mul_f32 v[6:7], v[8:9], v[6:7] op_sel_hi:[0,1]
	v_pk_mul_f32 v[4:5], v[8:9], v[4:5] op_sel_hi:[0,1]
	;; [unrolled: 1-line block ×4, first 2 shown]
.LBB8_40:
	v_cmp_gt_i32_e64 s1, s17, v38
	v_cmp_gt_i32_e64 s2, s17, v37
	;; [unrolled: 1-line block ×8, first 2 shown]
	s_and_not1_b32 vcc_lo, exec_lo, s0
	s_cbranch_vccnz .LBB8_42
; %bb.41:
	v_dual_max_num_f32 v8, v0, v0 :: v_dual_max_num_f32 v9, v1, v1
	v_dual_max_num_f32 v10, v2, v2 :: v_dual_bitop2_b32 v14, 1, v17 bitop3:0x14
	v_xor_b32_e32 v12, 4, v17
	s_delay_alu instid0(VALU_DEP_3) | instskip(NEXT) | instid1(VALU_DEP_1)
	v_max_num_f32_e32 v8, 0xff800000, v8
	v_cndmask_b32_e64 v8, 0xff800000, v8, s8
	s_delay_alu instid0(VALU_DEP_1) | instskip(NEXT) | instid1(VALU_DEP_1)
	v_max_num_f32_e32 v9, v8, v9
	v_cndmask_b32_e64 v8, v8, v9, s1
	s_delay_alu instid0(VALU_DEP_1) | instskip(NEXT) | instid1(VALU_DEP_1)
	v_dual_max_num_f32 v9, v8, v10 :: v_dual_max_num_f32 v10, v3, v3
	v_cndmask_b32_e64 v8, v8, v9, s2
	s_delay_alu instid0(VALU_DEP_1) | instskip(SKIP_1) | instid1(VALU_DEP_2)
	v_max_num_f32_e32 v9, v8, v10
	v_max_num_f32_e32 v10, v4, v4
	v_cndmask_b32_e64 v8, v8, v9, s3
	s_delay_alu instid0(VALU_DEP_1) | instskip(NEXT) | instid1(VALU_DEP_1)
	v_max_num_f32_e32 v9, v8, v10
	v_cndmask_b32_e64 v8, v8, v9, s4
	s_delay_alu instid0(VALU_DEP_1) | instskip(NEXT) | instid1(VALU_DEP_1)
	v_dual_max_num_f32 v9, v5, v5 :: v_dual_max_num_f32 v10, v8, v8
	v_max_num_f32_e32 v9, v10, v9
	s_delay_alu instid0(VALU_DEP_1) | instskip(NEXT) | instid1(VALU_DEP_1)
	v_dual_cndmask_b32 v8, v8, v9, s5 :: v_dual_max_num_f32 v9, v6, v6
	v_max_num_f32_e32 v10, v8, v8
	s_delay_alu instid0(VALU_DEP_1) | instskip(NEXT) | instid1(VALU_DEP_1)
	v_dual_max_num_f32 v9, v10, v9 :: v_dual_max_num_f32 v10, v7, v7
	v_cndmask_b32_e64 v8, v8, v9, s6
	v_xor_b32_e32 v9, 16, v17
	s_delay_alu instid0(VALU_DEP_1) | instskip(SKIP_1) | instid1(VALU_DEP_1)
	v_cmp_gt_i32_e32 vcc_lo, 32, v9
	v_cndmask_b32_e32 v9, v17, v9, vcc_lo
	v_dual_lshlrev_b32 v9, 2, v9 :: v_dual_max_num_f32 v11, v8, v8
	s_delay_alu instid0(VALU_DEP_1) | instskip(NEXT) | instid1(VALU_DEP_1)
	v_dual_max_num_f32 v10, v11, v10 :: v_dual_bitop2_b32 v11, 8, v17 bitop3:0x14
	v_cndmask_b32_e64 v8, v8, v10, s7
	s_delay_alu instid0(VALU_DEP_2) | instskip(SKIP_4) | instid1(VALU_DEP_2)
	v_cmp_gt_i32_e32 vcc_lo, 32, v11
	ds_bpermute_b32 v10, v9, v8
	v_dual_cndmask_b32 v11, v17, v11 :: v_dual_max_num_f32 v8, v8, v8
	v_cmp_gt_i32_e32 vcc_lo, 32, v12
	s_wait_dscnt 0x0
	v_dual_max_num_f32 v10, v10, v10 :: v_dual_lshlrev_b32 v11, 2, v11
	s_delay_alu instid0(VALU_DEP_1) | instskip(SKIP_3) | instid1(VALU_DEP_1)
	v_max_num_f32_e32 v8, v8, v10
	ds_bpermute_b32 v10, v11, v8
	s_wait_dscnt 0x0
	v_dual_cndmask_b32 v12, v17, v12, vcc_lo :: v_dual_max_num_f32 v10, v10, v10
	v_dual_lshlrev_b32 v12, 2, v12 :: v_dual_max_num_f32 v8, v8, v10
	ds_bpermute_b32 v10, v12, v8
	s_wait_dscnt 0x0
	v_dual_max_num_f32 v10, v10, v10 :: v_dual_bitop2_b32 v13, 2, v17 bitop3:0x14
	s_delay_alu instid0(VALU_DEP_1) | instskip(NEXT) | instid1(VALU_DEP_2)
	v_cmp_gt_i32_e32 vcc_lo, 32, v13
	v_dual_max_num_f32 v8, v8, v10 :: v_dual_cndmask_b32 v13, v17, v13
	v_cmp_gt_i32_e32 vcc_lo, 32, v14
	s_delay_alu instid0(VALU_DEP_2) | instskip(SKIP_4) | instid1(VALU_DEP_1)
	v_dual_cndmask_b32 v14, v17, v14 :: v_dual_lshlrev_b32 v13, 2, v13
	ds_bpermute_b32 v10, v13, v8
	v_lshlrev_b32_e32 v14, 2, v14
	s_wait_dscnt 0x0
	v_max_num_f32_e32 v10, v10, v10
	v_max_num_f32_e32 v8, v8, v10
	ds_bpermute_b32 v10, v14, v8
	s_wait_dscnt 0x0
	v_max_num_f32_e32 v10, v10, v10
	s_delay_alu instid0(VALU_DEP_1) | instskip(NEXT) | instid1(VALU_DEP_1)
	v_max_num_f32_e32 v8, v8, v10
	v_sub_f32_e32 v3, v3, v8
	s_delay_alu instid0(VALU_DEP_1) | instskip(SKIP_3) | instid1(VALU_DEP_3)
	v_dual_mul_f32 v17, 0x3fb8aa3b, v3 :: v_dual_sub_f32 v0, v0, v8
	v_dual_sub_f32 v1, v1, v8 :: v_dual_sub_f32 v2, v2, v8
	v_dual_sub_f32 v4, v4, v8 :: v_dual_sub_f32 v5, v5, v8
	;; [unrolled: 1-line block ×3, first 2 shown]
	v_mul_f32_e32 v10, 0x3fb8aa3b, v1
	s_delay_alu instid0(VALU_DEP_4) | instskip(SKIP_2) | instid1(VALU_DEP_3)
	v_dual_mul_f32 v8, 0x3fb8aa3b, v0 :: v_dual_mul_f32 v15, 0x3fb8aa3b, v2
	s_wait_loadcnt 0x0
	v_dual_mul_f32 v18, 0x3fb8aa3b, v4 :: v_dual_mul_f32 v19, 0x3fb8aa3b, v5
	v_fma_f32 v24, 0x3fb8aa3b, v1, -v10
	s_delay_alu instid0(VALU_DEP_3)
	v_fma_f32 v22, 0x3fb8aa3b, v0, -v8
	v_rndne_f32_e32 v23, v8
	v_rndne_f32_e32 v25, v10
	;; [unrolled: 1-line block ×3, first 2 shown]
	v_fma_f32 v39, 0x3fb8aa3b, v4, -v18
	v_fmac_f32_e32 v22, 0x32a5705f, v0
	s_delay_alu instid0(VALU_DEP_4) | instskip(SKIP_1) | instid1(VALU_DEP_4)
	v_dual_sub_f32 v8, v8, v23 :: v_dual_sub_f32 v10, v10, v25
	v_fma_f32 v26, 0x3fb8aa3b, v2, -v15
	v_dual_fmac_f32 v24, 0x32a5705f, v1 :: v_dual_fmac_f32 v39, 0x32a5705f, v4
	s_delay_alu instid0(VALU_DEP_3) | instskip(SKIP_1) | instid1(VALU_DEP_3)
	v_dual_sub_f32 v15, v15, v27 :: v_dual_add_f32 v8, v8, v22
	v_cvt_i32_f32_e32 v23, v23
	v_add_f32_e32 v10, v10, v24
	v_fma_f32 v28, 0x3fb8aa3b, v3, -v17
	v_rndne_f32_e32 v29, v17
	v_exp_f32_e32 v8, v8
	v_rndne_f32_e32 v42, v19
	v_exp_f32_e32 v10, v10
	v_cvt_i32_f32_e32 v25, v25
	v_cmp_ngt_f32_e32 vcc_lo, 0xc2ce8ed0, v0
	v_rndne_f32_e32 v40, v18
	v_dual_fmac_f32 v26, 0x32a5705f, v2 :: v_dual_sub_f32 v17, v17, v29
	v_ldexp_f32 v8, v8, v23
	v_fma_f32 v41, 0x3fb8aa3b, v5, -v19
	v_dual_fmac_f32 v28, 0x32a5705f, v3 :: v_dual_sub_f32 v19, v19, v42
	v_ldexp_f32 v10, v10, v25
	s_delay_alu instid0(VALU_DEP_4)
	v_cndmask_b32_e32 v8, 0, v8, vcc_lo
	v_cmp_ngt_f32_e32 vcc_lo, 0xc2ce8ed0, v1
	v_dual_sub_f32 v18, v18, v40 :: v_dual_add_f32 v15, v15, v26
	v_fmac_f32_e32 v41, 0x32a5705f, v5
	v_dual_add_f32 v17, v17, v28 :: v_dual_cndmask_b32 v10, 0, v10
	v_cmp_nlt_f32_e32 vcc_lo, 0x42b17218, v0
	s_delay_alu instid0(VALU_DEP_4)
	v_exp_f32_e32 v15, v15
	v_cvt_i32_f32_e32 v27, v27
	v_dual_mul_f32 v20, 0x3fb8aa3b, v6 :: v_dual_mul_f32 v21, 0x3fb8aa3b, v7
	v_cndmask_b32_e32 v0, 0x7f800000, v8, vcc_lo
	v_cmp_nlt_f32_e32 vcc_lo, 0x42b17218, v1
	v_exp_f32_e32 v8, v17
	s_delay_alu instid0(TRANS32_DEP_2)
	v_ldexp_f32 v15, v15, v27
	v_fma_f32 v43, 0x3fb8aa3b, v6, -v20
	v_rndne_f32_e32 v44, v20
	v_cndmask_b32_e32 v1, 0x7f800000, v10, vcc_lo
	v_cmp_ngt_f32_e32 vcc_lo, 0xc2ce8ed0, v2
	v_cvt_i32_f32_e32 v22, v29
	v_cndmask_b32_e64 v0, 0, v0, s8
	v_dual_fmac_f32 v43, 0x32a5705f, v6 :: v_dual_add_f32 v10, v18, v39
	v_cndmask_b32_e32 v15, 0, v15, vcc_lo
	v_cmp_nlt_f32_e32 vcc_lo, 0x42b17218, v2
	v_fma_f32 v45, 0x3fb8aa3b, v7, -v21
	v_sub_f32_e32 v17, v20, v44
	v_add_f32_e32 v18, v1, v0
	v_ldexp_f32 v8, v8, v22
	v_cndmask_b32_e32 v2, 0x7f800000, v15, vcc_lo
	v_cmp_ngt_f32_e32 vcc_lo, 0xc2ce8ed0, v3
	v_exp_f32_e32 v10, v10
	v_cvt_i32_f32_e32 v24, v40
	v_fmac_f32_e32 v45, 0x32a5705f, v7
	v_dual_cndmask_b32 v15, v0, v18, s1 :: v_dual_cndmask_b32 v8, 0, v8, vcc_lo
	v_cmp_nlt_f32_e32 vcc_lo, 0x42b17218, v3
	v_add_f32_e32 v18, v19, v41
	s_delay_alu instid0(TRANS32_DEP_1) | instskip(NEXT) | instid1(VALU_DEP_4)
	v_ldexp_f32 v10, v10, v24
	v_add_f32_e32 v19, v15, v2
	v_rndne_f32_e32 v46, v21
	v_cndmask_b32_e32 v3, 0x7f800000, v8, vcc_lo
	v_cmp_ngt_f32_e32 vcc_lo, 0xc2ce8ed0, v4
	v_exp_f32_e32 v18, v18
	v_cvt_i32_f32_e32 v26, v42
	v_cndmask_b32_e64 v8, v15, v19, s2
	v_dual_add_f32 v15, v17, v43 :: v_dual_cndmask_b32 v10, 0, v10
	v_cmp_nlt_f32_e32 vcc_lo, 0x42b17218, v4
	v_sub_f32_e32 v17, v21, v46
	s_delay_alu instid0(TRANS32_DEP_1) | instskip(NEXT) | instid1(VALU_DEP_4)
	v_ldexp_f32 v18, v18, v26
	v_exp_f32_e32 v15, v15
	v_cndmask_b32_e64 v1, 0, v1, s1
	v_cndmask_b32_e32 v4, 0x7f800000, v10, vcc_lo
	v_cmp_ngt_f32_e32 vcc_lo, 0xc2ce8ed0, v5
	v_dual_add_f32 v10, v17, v45 :: v_dual_add_f32 v19, v8, v3
	v_cvt_i32_f32_e32 v17, v44
	v_cndmask_b32_e64 v2, 0, v2, s2
	v_cndmask_b32_e32 v18, 0, v18, vcc_lo
	v_cmp_nlt_f32_e32 vcc_lo, 0x42b17218, v5
	v_exp_f32_e32 v10, v10
	v_ldexp_f32 v15, v15, v17
	v_cvt_i32_f32_e32 v17, v46
	v_cndmask_b32_e64 v3, 0, v3, s3
	v_cndmask_b32_e32 v5, 0x7f800000, v18, vcc_lo
	v_cmp_ngt_f32_e32 vcc_lo, 0xc2ce8ed0, v6
	s_delay_alu instid0(TRANS32_DEP_1) | instid1(VALU_DEP_4)
	v_ldexp_f32 v10, v10, v17
	v_cndmask_b32_e32 v15, 0, v15, vcc_lo
	v_cmp_nlt_f32_e32 vcc_lo, 0x42b17218, v6
	s_delay_alu instid0(VALU_DEP_2) | instskip(SKIP_2) | instid1(VALU_DEP_1)
	v_cndmask_b32_e32 v6, 0x7f800000, v15, vcc_lo
	v_cmp_ngt_f32_e32 vcc_lo, 0xc2ce8ed0, v7
	v_dual_cndmask_b32 v8, v8, v19, s3 :: v_dual_cndmask_b32 v10, 0, v10, vcc_lo
	v_add_f32_e32 v19, v8, v4
	v_cmp_nlt_f32_e32 vcc_lo, 0x42b17218, v7
	s_delay_alu instid0(VALU_DEP_2) | instskip(NEXT) | instid1(VALU_DEP_1)
	v_cndmask_b32_e64 v8, v8, v19, s4
	v_dual_cndmask_b32 v7, 0x7f800000, v10 :: v_dual_add_f32 v18, v8, v5
	s_delay_alu instid0(VALU_DEP_1) | instskip(NEXT) | instid1(VALU_DEP_1)
	v_cndmask_b32_e64 v8, v8, v18, s5
	v_add_f32_e32 v15, v8, v6
	s_delay_alu instid0(VALU_DEP_1) | instskip(NEXT) | instid1(VALU_DEP_1)
	v_cndmask_b32_e64 v8, v8, v15, s6
	v_dual_add_f32 v10, v8, v7 :: v_dual_cndmask_b32 v5, 0, v5, s5
	s_delay_alu instid0(VALU_DEP_1)
	v_cndmask_b32_e64 v8, v8, v10, s7
	ds_bpermute_b32 v9, v9, v8
	s_wait_dscnt 0x0
	v_add_f32_e32 v8, v8, v9
	ds_bpermute_b32 v9, v11, v8
	s_wait_dscnt 0x0
	v_dual_add_f32 v8, v8, v9 :: v_dual_cndmask_b32 v7, 0, v7, s7
	ds_bpermute_b32 v9, v12, v8
	s_wait_dscnt 0x0
	v_add_f32_e32 v8, v8, v9
	ds_bpermute_b32 v9, v13, v8
	s_wait_dscnt 0x0
	v_add_f32_e32 v8, v8, v9
	ds_bpermute_b32 v9, v14, v8
	s_wait_dscnt 0x0
	v_add_f32_e32 v8, v8, v9
	s_delay_alu instid0(VALU_DEP_1) | instskip(SKIP_1) | instid1(VALU_DEP_2)
	v_div_scale_f32 v9, null, v8, v8, 1.0
	v_div_scale_f32 v12, vcc_lo, 1.0, v8, 1.0
	v_rcp_f32_e32 v10, v9
	v_nop
	s_delay_alu instid0(TRANS32_DEP_1) | instskip(NEXT) | instid1(VALU_DEP_1)
	v_fma_f32 v11, -v9, v10, 1.0
	v_fmac_f32_e32 v10, v11, v10
	s_delay_alu instid0(VALU_DEP_1) | instskip(NEXT) | instid1(VALU_DEP_1)
	v_dual_mul_f32 v11, v12, v10 :: v_dual_cndmask_b32 v4, 0, v4, s4
	v_fma_f32 v13, -v9, v11, v12
	s_delay_alu instid0(VALU_DEP_1) | instskip(NEXT) | instid1(VALU_DEP_1)
	v_fmac_f32_e32 v11, v13, v10
	v_dual_cndmask_b32 v6, 0, v6, s6 :: v_dual_fma_f32 v9, -v9, v11, v12
	s_delay_alu instid0(VALU_DEP_1) | instskip(NEXT) | instid1(VALU_DEP_1)
	v_div_fmas_f32 v9, v9, v10, v11
	v_div_fixup_f32 v8, v9, v8, 1.0
	s_delay_alu instid0(VALU_DEP_1) | instskip(SKIP_3) | instid1(VALU_DEP_4)
	v_dual_mul_f32 v9, v0, v8 :: v_dual_mul_f32 v10, v1, v8
	v_dual_mul_f32 v11, v2, v8 :: v_dual_mul_f32 v12, v3, v8
	;; [unrolled: 1-line block ×4, first 2 shown]
	v_dual_cndmask_b32 v0, v0, v9, s8 :: v_dual_cndmask_b32 v1, v1, v10, s1
	s_delay_alu instid0(VALU_DEP_4) | instskip(NEXT) | instid1(VALU_DEP_4)
	v_dual_cndmask_b32 v2, v2, v11, s2 :: v_dual_cndmask_b32 v3, v3, v12, s3
	v_dual_cndmask_b32 v4, v4, v13, s4 :: v_dual_cndmask_b32 v5, v5, v14, s5
	s_delay_alu instid0(VALU_DEP_4)
	v_dual_cndmask_b32 v6, v6, v15, s6 :: v_dual_cndmask_b32 v7, v7, v8, s7
.LBB8_42:
	v_mul_lo_u32 v8, v30, s17
	s_mov_b32 s0, exec_lo
	s_delay_alu instid0(VALU_DEP_1) | instskip(NEXT) | instid1(VALU_DEP_1)
	v_ashrrev_i32_e32 v9, 31, v8
	v_lshl_add_u64 v[8:9], v[8:9], 2, s[10:11]
	v_cmpx_gt_i32_e64 s17, v31
	s_cbranch_execnz .LBB8_52
; %bb.43:
	s_or_b32 exec_lo, exec_lo, s0
	s_delay_alu instid0(SALU_CYCLE_1)
	s_mov_b32 s0, exec_lo
	v_cmpx_gt_i32_e64 s17, v38
	s_cbranch_execnz .LBB8_53
.LBB8_44:
	s_or_b32 exec_lo, exec_lo, s0
	s_delay_alu instid0(SALU_CYCLE_1)
	s_mov_b32 s0, exec_lo
	v_cmpx_gt_i32_e64 s17, v37
	s_cbranch_execnz .LBB8_54
.LBB8_45:
	s_or_b32 exec_lo, exec_lo, s0
	s_delay_alu instid0(SALU_CYCLE_1)
	s_mov_b32 s0, exec_lo
	v_cmpx_gt_i32_e64 s17, v36
	s_cbranch_execnz .LBB8_55
.LBB8_46:
	s_or_b32 exec_lo, exec_lo, s0
	s_delay_alu instid0(SALU_CYCLE_1)
	s_mov_b32 s0, exec_lo
	v_cmpx_gt_i32_e64 s17, v35
	s_cbranch_execnz .LBB8_56
.LBB8_47:
	s_or_b32 exec_lo, exec_lo, s0
	s_delay_alu instid0(SALU_CYCLE_1)
	s_mov_b32 s0, exec_lo
	v_cmpx_gt_i32_e64 s17, v34
	s_cbranch_execnz .LBB8_57
.LBB8_48:
	s_or_b32 exec_lo, exec_lo, s0
	s_delay_alu instid0(SALU_CYCLE_1)
	s_mov_b32 s0, exec_lo
	v_cmpx_gt_i32_e64 s17, v33
	s_cbranch_execnz .LBB8_58
.LBB8_49:
	s_or_b32 exec_lo, exec_lo, s0
	v_cmp_gt_i32_e32 vcc_lo, s17, v32
	s_and_b32 exec_lo, exec_lo, vcc_lo
	s_cbranch_execz .LBB8_51
.LBB8_50:
	v_dual_mov_b32 v17, 0 :: v_dual_mul_f32 v2, s19, v7
	s_delay_alu instid0(VALU_DEP_1)
	v_add_nc_u64_e32 v[0:1], v[8:9], v[16:17]
	global_store_b32 v[0:1], v2, off offset:896
.LBB8_51:
	s_endpgm
.LBB8_52:
	v_dual_mov_b32 v17, 0 :: v_dual_mul_f32 v0, s19, v0
	s_delay_alu instid0(VALU_DEP_1) | instskip(SKIP_3) | instid1(SALU_CYCLE_1)
	v_add_nc_u64_e32 v[10:11], v[8:9], v[16:17]
	global_store_b32 v[10:11], v0, off
	s_wait_xcnt 0x0
	s_or_b32 exec_lo, exec_lo, s0
	s_mov_b32 s0, exec_lo
	v_cmpx_gt_i32_e64 s17, v38
	s_cbranch_execz .LBB8_44
.LBB8_53:
	v_dual_mov_b32 v17, 0 :: v_dual_mul_f32 v0, s19, v1
	s_delay_alu instid0(VALU_DEP_1) | instskip(SKIP_3) | instid1(SALU_CYCLE_1)
	v_add_nc_u64_e32 v[10:11], v[8:9], v[16:17]
	global_store_b32 v[10:11], v0, off offset:128
	s_wait_xcnt 0x0
	s_or_b32 exec_lo, exec_lo, s0
	s_mov_b32 s0, exec_lo
	v_cmpx_gt_i32_e64 s17, v37
	s_cbranch_execz .LBB8_45
.LBB8_54:
	v_dual_mov_b32 v17, 0 :: v_dual_mul_f32 v2, s19, v2
	s_delay_alu instid0(VALU_DEP_1) | instskip(SKIP_3) | instid1(SALU_CYCLE_1)
	v_add_nc_u64_e32 v[0:1], v[8:9], v[16:17]
	global_store_b32 v[0:1], v2, off offset:256
	s_wait_xcnt 0x0
	s_or_b32 exec_lo, exec_lo, s0
	s_mov_b32 s0, exec_lo
	v_cmpx_gt_i32_e64 s17, v36
	s_cbranch_execz .LBB8_46
.LBB8_55:
	v_dual_mov_b32 v17, 0 :: v_dual_mul_f32 v2, s19, v3
	s_delay_alu instid0(VALU_DEP_1) | instskip(SKIP_3) | instid1(SALU_CYCLE_1)
	v_add_nc_u64_e32 v[0:1], v[8:9], v[16:17]
	global_store_b32 v[0:1], v2, off offset:384
	s_wait_xcnt 0x0
	s_or_b32 exec_lo, exec_lo, s0
	s_mov_b32 s0, exec_lo
	v_cmpx_gt_i32_e64 s17, v35
	s_cbranch_execz .LBB8_47
.LBB8_56:
	v_dual_mov_b32 v17, 0 :: v_dual_mul_f32 v2, s19, v4
	s_delay_alu instid0(VALU_DEP_1) | instskip(SKIP_3) | instid1(SALU_CYCLE_1)
	v_add_nc_u64_e32 v[0:1], v[8:9], v[16:17]
	global_store_b32 v[0:1], v2, off offset:512
	s_wait_xcnt 0x0
	s_or_b32 exec_lo, exec_lo, s0
	s_mov_b32 s0, exec_lo
	v_cmpx_gt_i32_e64 s17, v34
	s_cbranch_execz .LBB8_48
.LBB8_57:
	v_dual_mov_b32 v17, 0 :: v_dual_mul_f32 v2, s19, v5
	s_delay_alu instid0(VALU_DEP_1) | instskip(SKIP_3) | instid1(SALU_CYCLE_1)
	v_add_nc_u64_e32 v[0:1], v[8:9], v[16:17]
	global_store_b32 v[0:1], v2, off offset:640
	s_wait_xcnt 0x0
	s_or_b32 exec_lo, exec_lo, s0
	s_mov_b32 s0, exec_lo
	v_cmpx_gt_i32_e64 s17, v33
	s_cbranch_execz .LBB8_49
.LBB8_58:
	v_dual_mov_b32 v17, 0 :: v_dual_mul_f32 v2, s19, v6
	s_delay_alu instid0(VALU_DEP_1)
	v_add_nc_u64_e32 v[0:1], v[8:9], v[16:17]
	global_store_b32 v[0:1], v2, off offset:768
	s_wait_xcnt 0x0
	s_or_b32 exec_lo, exec_lo, s0
	v_cmp_gt_i32_e32 vcc_lo, s17, v32
	s_and_b32 exec_lo, exec_lo, vcc_lo
	s_cbranch_execnz .LBB8_50
	s_branch .LBB8_51
	.section	.rodata,"a",@progbits
	.p2align	6, 0x0
	.amdhsa_kernel _Z13topk_moe_cudaILi256ELb1EEvPKfPfPiS2_iiff15topk_moe_config
		.amdhsa_group_segment_fixed_size 0
		.amdhsa_private_segment_fixed_size 0
		.amdhsa_kernarg_size 312
		.amdhsa_user_sgpr_count 2
		.amdhsa_user_sgpr_dispatch_ptr 0
		.amdhsa_user_sgpr_queue_ptr 0
		.amdhsa_user_sgpr_kernarg_segment_ptr 1
		.amdhsa_user_sgpr_dispatch_id 0
		.amdhsa_user_sgpr_kernarg_preload_length 0
		.amdhsa_user_sgpr_kernarg_preload_offset 0
		.amdhsa_user_sgpr_private_segment_size 0
		.amdhsa_wavefront_size32 1
		.amdhsa_uses_dynamic_stack 0
		.amdhsa_enable_private_segment 0
		.amdhsa_system_sgpr_workgroup_id_x 1
		.amdhsa_system_sgpr_workgroup_id_y 0
		.amdhsa_system_sgpr_workgroup_id_z 0
		.amdhsa_system_sgpr_workgroup_info 0
		.amdhsa_system_vgpr_workitem_id 1
		.amdhsa_next_free_vgpr 52
		.amdhsa_next_free_sgpr 20
		.amdhsa_named_barrier_count 0
		.amdhsa_reserve_vcc 1
		.amdhsa_float_round_mode_32 0
		.amdhsa_float_round_mode_16_64 0
		.amdhsa_float_denorm_mode_32 3
		.amdhsa_float_denorm_mode_16_64 3
		.amdhsa_fp16_overflow 0
		.amdhsa_memory_ordered 1
		.amdhsa_forward_progress 1
		.amdhsa_inst_pref_size 60
		.amdhsa_round_robin_scheduling 0
		.amdhsa_exception_fp_ieee_invalid_op 0
		.amdhsa_exception_fp_denorm_src 0
		.amdhsa_exception_fp_ieee_div_zero 0
		.amdhsa_exception_fp_ieee_overflow 0
		.amdhsa_exception_fp_ieee_underflow 0
		.amdhsa_exception_fp_ieee_inexact 0
		.amdhsa_exception_int_div_zero 0
	.end_amdhsa_kernel
	.section	.text._Z13topk_moe_cudaILi256ELb1EEvPKfPfPiS2_iiff15topk_moe_config,"axG",@progbits,_Z13topk_moe_cudaILi256ELb1EEvPKfPfPiS2_iiff15topk_moe_config,comdat
.Lfunc_end8:
	.size	_Z13topk_moe_cudaILi256ELb1EEvPKfPfPiS2_iiff15topk_moe_config, .Lfunc_end8-_Z13topk_moe_cudaILi256ELb1EEvPKfPfPiS2_iiff15topk_moe_config
                                        ; -- End function
	.set _Z13topk_moe_cudaILi256ELb1EEvPKfPfPiS2_iiff15topk_moe_config.num_vgpr, 52
	.set _Z13topk_moe_cudaILi256ELb1EEvPKfPfPiS2_iiff15topk_moe_config.num_agpr, 0
	.set _Z13topk_moe_cudaILi256ELb1EEvPKfPfPiS2_iiff15topk_moe_config.numbered_sgpr, 20
	.set _Z13topk_moe_cudaILi256ELb1EEvPKfPfPiS2_iiff15topk_moe_config.num_named_barrier, 0
	.set _Z13topk_moe_cudaILi256ELb1EEvPKfPfPiS2_iiff15topk_moe_config.private_seg_size, 0
	.set _Z13topk_moe_cudaILi256ELb1EEvPKfPfPiS2_iiff15topk_moe_config.uses_vcc, 1
	.set _Z13topk_moe_cudaILi256ELb1EEvPKfPfPiS2_iiff15topk_moe_config.uses_flat_scratch, 0
	.set _Z13topk_moe_cudaILi256ELb1EEvPKfPfPiS2_iiff15topk_moe_config.has_dyn_sized_stack, 0
	.set _Z13topk_moe_cudaILi256ELb1EEvPKfPfPiS2_iiff15topk_moe_config.has_recursion, 0
	.set _Z13topk_moe_cudaILi256ELb1EEvPKfPfPiS2_iiff15topk_moe_config.has_indirect_call, 0
	.section	.AMDGPU.csdata,"",@progbits
; Kernel info:
; codeLenInByte = 7640
; TotalNumSgprs: 22
; NumVgprs: 52
; ScratchSize: 0
; MemoryBound: 0
; FloatMode: 240
; IeeeMode: 1
; LDSByteSize: 0 bytes/workgroup (compile time only)
; SGPRBlocks: 0
; VGPRBlocks: 3
; NumSGPRsForWavesPerEU: 22
; NumVGPRsForWavesPerEU: 52
; NamedBarCnt: 0
; Occupancy: 16
; WaveLimiterHint : 1
; COMPUTE_PGM_RSRC2:SCRATCH_EN: 0
; COMPUTE_PGM_RSRC2:USER_SGPR: 2
; COMPUTE_PGM_RSRC2:TRAP_HANDLER: 0
; COMPUTE_PGM_RSRC2:TGID_X_EN: 1
; COMPUTE_PGM_RSRC2:TGID_Y_EN: 0
; COMPUTE_PGM_RSRC2:TGID_Z_EN: 0
; COMPUTE_PGM_RSRC2:TIDIG_COMP_CNT: 1
	.section	.text._Z13topk_moe_cudaILi512ELb1EEvPKfPfPiS2_iiff15topk_moe_config,"axG",@progbits,_Z13topk_moe_cudaILi512ELb1EEvPKfPfPiS2_iiff15topk_moe_config,comdat
	.protected	_Z13topk_moe_cudaILi512ELb1EEvPKfPfPiS2_iiff15topk_moe_config ; -- Begin function _Z13topk_moe_cudaILi512ELb1EEvPKfPfPiS2_iiff15topk_moe_config
	.globl	_Z13topk_moe_cudaILi512ELb1EEvPKfPfPiS2_iiff15topk_moe_config
	.p2align	8
	.type	_Z13topk_moe_cudaILi512ELb1EEvPKfPfPiS2_iiff15topk_moe_config,@function
_Z13topk_moe_cudaILi512ELb1EEvPKfPfPiS2_iiff15topk_moe_config: ; @_Z13topk_moe_cudaILi512ELb1EEvPKfPfPiS2_iiff15topk_moe_config
; %bb.0:
	s_clause 0x1
	s_load_u16 s2, s[0:1], 0x46
	s_load_b128 s[24:27], s[0:1], 0x20
	s_bfe_u32 s3, ttmp6, 0x4000c
	s_and_b32 s4, ttmp6, 15
	s_add_co_i32 s3, s3, 1
	v_bfe_u32 v1, v0, 10, 10
	s_mul_i32 s3, ttmp9, s3
	s_delay_alu instid0(SALU_CYCLE_1) | instskip(SKIP_1) | instid1(SALU_CYCLE_1)
	s_add_co_i32 s4, s4, s3
	s_getreg_b32 s3, hwreg(HW_REG_IB_STS2, 6, 4)
	s_cmp_eq_u32 s3, 0
	s_cselect_b32 s3, ttmp9, s4
	s_wait_kmcnt 0x0
	v_mad_u32 v70, s3, s2, v1
	s_mov_b32 s2, exec_lo
	s_delay_alu instid0(VALU_DEP_1)
	v_cmpx_gt_i32_e64 s24, v70
	s_cbranch_execz .LBB9_59
; %bb.1:
	s_load_b256 s[16:23], s[0:1], 0x0
	v_dual_mov_b32 v35, 0 :: v_dual_lshlrev_b32 v2, 9, v70
	v_and_b32_e32 v71, 0x3ff, v0
	s_delay_alu instid0(VALU_DEP_1) | instskip(SKIP_1) | instid1(VALU_DEP_1)
	v_dual_ashrrev_i32 v3, 31, v2 :: v_dual_lshlrev_b32 v34, 2, v71
	s_wait_kmcnt 0x0
	v_lshl_add_u64 v[0:1], v[2:3], 2, s[16:17]
	s_delay_alu instid0(VALU_DEP_1)
	v_add_nc_u64_e32 v[4:5], v[0:1], v[34:35]
	s_clause 0x1
	global_load_u16 v0, v35, s[0:1] offset:48
	global_load_u8 v1, v35, s[0:1] offset:50
	s_clause 0xf
	global_load_b32 v33, v[4:5], off
	global_load_b32 v32, v[4:5], off offset:128
	global_load_b32 v31, v[4:5], off offset:256
	global_load_b32 v30, v[4:5], off offset:384
	global_load_b32 v29, v[4:5], off offset:512
	global_load_b32 v28, v[4:5], off offset:640
	global_load_b32 v27, v[4:5], off offset:768
	global_load_b32 v26, v[4:5], off offset:896
	global_load_b32 v25, v[4:5], off offset:1024
	global_load_b32 v24, v[4:5], off offset:1152
	global_load_b32 v23, v[4:5], off offset:1280
	global_load_b32 v18, v[4:5], off offset:1408
	global_load_b32 v22, v[4:5], off offset:1536
	; meta instruction
	; meta instruction
	global_load_b32 v21, v[4:5], off offset:1664
	global_load_b32 v20, v[4:5], off offset:1792
	;; [unrolled: 1-line block ×3, first 2 shown]
	s_wait_loadcnt 0x11
	s_wait_xcnt 0x10
	v_readfirstlane_b32 s1, v0
	s_wait_loadcnt 0x10
	v_and_b32_e32 v1, 1, v1
	s_and_b32 s5, 0xffff, s1
	s_delay_alu instid0(VALU_DEP_1)
	v_cmp_eq_u32_e64 s0, 1, v1
	s_and_b32 vcc_lo, exec_lo, s0
	s_cbranch_vccnz .LBB9_7
; %bb.2:
	v_and_b32_e32 v0, 1, v0
	s_mov_b32 s1, 0
	s_delay_alu instid0(VALU_DEP_1)
	v_cmp_eq_u32_e32 vcc_lo, 0, v0
	s_cbranch_vccz .LBB9_4
; %bb.3:
	s_wait_loadcnt 0xe
	v_max3_num_f32 v0, v33, 0xff800000, v32
	v_mbcnt_lo_u32_b32 v1, -1, 0
	s_wait_loadcnt 0xc
	s_delay_alu instid0(VALU_DEP_2) | instskip(SKIP_1) | instid1(VALU_DEP_2)
	v_max3_num_f32 v0, v0, v31, v30
	s_wait_xcnt 0x0
	v_xor_b32_e32 v4, 16, v1
	v_xor_b32_e32 v5, 8, v1
	s_wait_loadcnt 0xa
	v_max3_num_f32 v0, v0, v29, v28
	s_delay_alu instid0(VALU_DEP_3) | instskip(SKIP_1) | instid1(VALU_DEP_2)
	v_cmp_gt_i32_e32 vcc_lo, 32, v4
	s_wait_loadcnt 0x8
	v_max3_num_f32 v0, v0, v27, v26
	v_cndmask_b32_e32 v4, v1, v4, vcc_lo
	v_cmp_gt_i32_e32 vcc_lo, 32, v5
	s_wait_loadcnt 0x6
	s_delay_alu instid0(VALU_DEP_3) | instskip(NEXT) | instid1(VALU_DEP_3)
	v_max3_num_f32 v0, v0, v25, v24
	v_dual_lshlrev_b32 v35, 2, v4 :: v_dual_cndmask_b32 v5, v1, v5, vcc_lo
	s_wait_loadcnt 0x4
	s_delay_alu instid0(VALU_DEP_2) | instskip(NEXT) | instid1(VALU_DEP_2)
	v_max3_num_f32 v0, v0, v23, v18
	v_lshlrev_b32_e32 v36, 2, v5
	v_xor_b32_e32 v5, 4, v1
	s_wait_loadcnt 0x2
	s_delay_alu instid0(VALU_DEP_3) | instskip(NEXT) | instid1(VALU_DEP_2)
	v_max3_num_f32 v0, v0, v22, v21
	v_cmp_gt_i32_e32 vcc_lo, 32, v5
	s_wait_loadcnt 0x0
	s_delay_alu instid0(VALU_DEP_2) | instskip(SKIP_3) | instid1(VALU_DEP_1)
	v_max3_num_f32 v0, v0, v20, v19
	ds_bpermute_b32 v4, v35, v0
	s_wait_dscnt 0x0
	v_max_num_f32_e32 v4, v4, v4
	v_max_num_f32_e32 v0, v0, v4
	ds_bpermute_b32 v4, v36, v0
	s_wait_dscnt 0x0
	v_dual_cndmask_b32 v5, v1, v5 :: v_dual_max_num_f32 v4, v4, v4
	s_delay_alu instid0(VALU_DEP_1) | instskip(SKIP_3) | instid1(VALU_DEP_1)
	v_dual_max_num_f32 v0, v0, v4 :: v_dual_lshlrev_b32 v37, 2, v5
	ds_bpermute_b32 v4, v37, v0
	s_wait_dscnt 0x0
	v_dual_max_num_f32 v4, v4, v4 :: v_dual_bitop2_b32 v5, 2, v1 bitop3:0x14
	v_cmp_gt_i32_e32 vcc_lo, 32, v5
	s_delay_alu instid0(VALU_DEP_2) | instskip(NEXT) | instid1(VALU_DEP_1)
	v_dual_max_num_f32 v0, v0, v4 :: v_dual_cndmask_b32 v5, v1, v5
	v_lshlrev_b32_e32 v38, 2, v5
	v_xor_b32_e32 v5, 1, v1
	s_delay_alu instid0(VALU_DEP_1) | instskip(SKIP_4) | instid1(VALU_DEP_1)
	v_cmp_gt_i32_e32 vcc_lo, 32, v5
	v_cndmask_b32_e32 v1, v1, v5, vcc_lo
	ds_bpermute_b32 v4, v38, v0
	s_wait_dscnt 0x0
	v_dual_max_num_f32 v4, v4, v4 :: v_dual_lshlrev_b32 v39, 2, v1
	v_max_num_f32_e32 v0, v0, v4
	ds_bpermute_b32 v1, v39, v0
	s_wait_dscnt 0x0
	v_max_num_f32_e32 v1, v1, v1
	s_delay_alu instid0(VALU_DEP_1) | instskip(NEXT) | instid1(VALU_DEP_1)
	v_max_num_f32_e32 v0, v0, v1
	v_sub_f32_e32 v7, v30, v0
	s_delay_alu instid0(VALU_DEP_1)
	v_mul_f32_e32 v43, 0x3fb8aa3b, v7
	v_dual_sub_f32 v1, v33, v0 :: v_dual_sub_f32 v4, v32, v0
	v_dual_sub_f32 v5, v31, v0 :: v_dual_sub_f32 v8, v29, v0
	;; [unrolled: 1-line block ×7, first 2 shown]
	v_dual_sub_f32 v17, v21, v0 :: v_dual_mul_f32 v0, 0x3fb8aa3b, v1
	v_dual_mul_f32 v47, 0x3fb8aa3b, v11 :: v_dual_mul_f32 v42, 0x3fb8aa3b, v5
	v_dual_mul_f32 v51, 0x3fb8aa3b, v15 :: v_dual_mul_f32 v46, 0x3fb8aa3b, v10
	s_delay_alu instid0(VALU_DEP_3)
	v_dual_mul_f32 v53, 0x3fb8aa3b, v17 :: v_dual_mul_f32 v48, 0x3fb8aa3b, v12
	v_dual_mul_f32 v55, 0x3fb8aa3b, v41 :: v_dual_mul_f32 v6, 0x3fb8aa3b, v4
	;; [unrolled: 1-line block ×3, first 2 shown]
	v_mul_f32_e32 v49, 0x3fb8aa3b, v13
	v_fma_f32 v56, 0x3fb8aa3b, v1, -v0
	v_rndne_f32_e32 v57, v0
	v_fma_f32 v62, 0x3fb8aa3b, v7, -v43
	v_rndne_f32_e32 v63, v43
	;; [unrolled: 2-line block ×3, first 2 shown]
	v_mul_f32_e32 v54, 0x3fb8aa3b, v40
	v_fma_f32 v80, 0x3fb8aa3b, v15, -v51
	v_rndne_f32_e32 v81, v51
	v_fma_f32 v88, 0x3fb8aa3b, v41, -v55
	v_rndne_f32_e32 v89, v55
	v_dual_mul_f32 v50, 0x3fb8aa3b, v14 :: v_dual_sub_f32 v43, v43, v63
	v_fma_f32 v58, 0x3fb8aa3b, v4, -v6
	v_rndne_f32_e32 v59, v6
	v_fma_f32 v72, 0x3fb8aa3b, v11, -v47
	v_fma_f32 v76, 0x3fb8aa3b, v13, -v49
	v_rndne_f32_e32 v77, v49
	s_delay_alu instid0(VALU_DEP_4)
	v_dual_sub_f32 v0, v0, v57 :: v_dual_sub_f32 v6, v6, v59
	v_dual_fmac_f32 v62, 0x32a5705f, v7 :: v_dual_sub_f32 v51, v51, v81
	v_fmac_f32_e32 v56, 0x32a5705f, v1
	v_dual_fmac_f32 v68, 0x32a5705f, v10 :: v_dual_sub_f32 v55, v55, v89
	v_sub_f32_e32 v47, v47, v73
	v_rndne_f32_e32 v87, v54
	v_fmac_f32_e32 v88, 0x32a5705f, v41
	v_fmac_f32_e32 v80, 0x32a5705f, v15
	v_fma_f32 v60, 0x3fb8aa3b, v5, -v42
	v_rndne_f32_e32 v61, v42
	v_fma_f32 v64, 0x3fb8aa3b, v8, -v44
	v_rndne_f32_e32 v65, v44
	;; [unrolled: 2-line block ×3, first 2 shown]
	v_rndne_f32_e32 v79, v50
	v_rndne_f32_e32 v85, v53
	v_fma_f32 v86, 0x3fb8aa3b, v40, -v54
	v_dual_fmac_f32 v58, 0x32a5705f, v4 :: v_dual_sub_f32 v49, v49, v77
	v_dual_add_f32 v43, v43, v62 :: v_dual_sub_f32 v54, v54, v87
	v_add_f32_e32 v0, v0, v56
	v_dual_add_f32 v55, v55, v88 :: v_dual_fmac_f32 v76, 0x32a5705f, v13
	v_dual_add_f32 v51, v51, v80 :: v_dual_fmac_f32 v72, 0x32a5705f, v11
	v_dual_mul_f32 v52, 0x3fb8aa3b, v16 :: v_dual_sub_f32 v45, v45, v67
	v_rndne_f32_e32 v75, v48
	v_fma_f32 v78, 0x3fb8aa3b, v14, -v50
	v_fma_f32 v84, 0x3fb8aa3b, v17, -v53
	v_sub_f32_e32 v42, v42, v61
	v_dual_fmac_f32 v64, 0x32a5705f, v8 :: v_dual_sub_f32 v53, v53, v85
	v_dual_sub_f32 v44, v44, v65 :: v_dual_sub_f32 v50, v50, v79
	v_dual_add_f32 v6, v6, v58 :: v_dual_add_f32 v49, v49, v76
	v_dual_fmac_f32 v66, 0x32a5705f, v9 :: v_dual_add_f32 v47, v47, v72
	v_fmac_f32_e32 v60, 0x32a5705f, v5
	v_exp_f32_e32 v0, v0
	v_cvt_i32_f32_e32 v57, v57
	v_fma_f32 v74, 0x3fb8aa3b, v12, -v48
	v_sub_f32_e32 v48, v48, v75
	v_dual_add_f32 v44, v44, v64 :: v_dual_add_f32 v45, v45, v66
	v_add_f32_e32 v42, v42, v60
	v_exp_f32_e32 v6, v6
	v_cvt_i32_f32_e32 v59, v59
	v_ldexp_f32 v0, v0, v57
	v_cmp_ngt_f32_e32 vcc_lo, 0xc2ce8ed0, v1
	v_exp_f32_e32 v42, v42
	v_cvt_i32_f32_e32 v61, v61
	v_exp_f32_e32 v43, v43
	v_ldexp_f32 v6, v6, v59
	v_cndmask_b32_e32 v0, 0, v0, vcc_lo
	v_cmp_ngt_f32_e32 vcc_lo, 0xc2ce8ed0, v4
	v_cvt_i32_f32_e32 v63, v63
	v_ldexp_f32 v42, v42, v61
	v_exp_f32_e32 v44, v44
	v_cvt_i32_f32_e32 v65, v65
	v_cndmask_b32_e32 v6, 0, v6, vcc_lo
	v_cmp_ngt_f32_e32 vcc_lo, 0xc2ce8ed0, v5
	v_ldexp_f32 v43, v43, v63
	v_rndne_f32_e32 v69, v46
	v_exp_f32_e32 v49, v49
	v_cvt_i32_f32_e32 v77, v77
	v_cndmask_b32_e32 v42, 0, v42, vcc_lo
	v_cmp_nlt_f32_e32 vcc_lo, 0x42b17218, v1
	v_ldexp_f32 v44, v44, v65
	v_fma_f32 v82, 0x3fb8aa3b, v16, -v52
	v_rndne_f32_e32 v83, v52
	v_sub_f32_e32 v46, v46, v69
	v_cndmask_b32_e32 v0, 0x7f800000, v0, vcc_lo
	v_cmp_nlt_f32_e32 vcc_lo, 0x42b17218, v4
	v_exp_f32_e32 v45, v45
	v_cvt_i32_f32_e32 v67, v67
	v_ldexp_f32 v49, v49, v77
	v_dual_sub_f32 v52, v52, v83 :: v_dual_cndmask_b32 v1, 0x7f800000, v6
	v_cmp_ngt_f32_e32 vcc_lo, 0xc2ce8ed0, v7
	v_fmac_f32_e32 v74, 0x32a5705f, v12
	s_delay_alu instid0(TRANS32_DEP_1)
	v_ldexp_f32 v45, v45, v67
	v_cvt_i32_f32_e32 v69, v69
	v_exp_f32_e32 v51, v51
	v_cndmask_b32_e32 v4, 0, v43, vcc_lo
	v_cmp_nlt_f32_e32 vcc_lo, 0x42b17218, v5
	v_add_f32_e32 v5, v0, v1
	v_cvt_i32_f32_e32 v81, v81
	v_exp_f32_e32 v47, v47
	v_cvt_i32_f32_e32 v73, v73
	v_cndmask_b32_e32 v6, 0x7f800000, v42, vcc_lo
	v_cmp_ngt_f32_e32 vcc_lo, 0xc2ce8ed0, v8
	v_fmac_f32_e32 v82, 0x32a5705f, v16
	v_ldexp_f32 v51, v51, v81
	s_delay_alu instid0(VALU_DEP_4)
	v_dual_add_f32 v48, v48, v74 :: v_dual_add_f32 v5, v6, v5
	v_cndmask_b32_e32 v42, 0, v44, vcc_lo
	v_cmp_nlt_f32_e32 vcc_lo, 0x42b17218, v7
	v_dual_add_f32 v46, v46, v68 :: v_dual_add_f32 v52, v52, v82
	v_ldexp_f32 v47, v47, v73
	v_exp_f32_e32 v48, v48
	v_cndmask_b32_e32 v7, 0x7f800000, v4, vcc_lo
	v_cmp_ngt_f32_e32 vcc_lo, 0xc2ce8ed0, v9
	v_exp_f32_e32 v46, v46
	v_fmac_f32_e32 v86, 0x32a5705f, v40
	v_cvt_i32_f32_e32 v75, v75
	v_cvt_i32_f32_e32 v79, v79
	v_cndmask_b32_e32 v43, 0, v45, vcc_lo
	v_cmp_nlt_f32_e32 vcc_lo, 0x42b17218, v8
	v_dual_add_f32 v54, v54, v86 :: v_dual_add_f32 v8, v7, v5
	v_ldexp_f32 v46, v46, v69
	v_ldexp_f32 v48, v48, v75
	v_cndmask_b32_e32 v4, 0x7f800000, v42, vcc_lo
	v_cmp_ngt_f32_e32 vcc_lo, 0xc2ce8ed0, v10
	v_fmac_f32_e32 v84, 0x32a5705f, v17
	v_cvt_i32_f32_e32 v85, v85
	v_exp_f32_e32 v52, v52
	v_cvt_i32_f32_e32 v83, v83
	v_cndmask_b32_e32 v42, 0, v46, vcc_lo
	v_cmp_nlt_f32_e32 vcc_lo, 0x42b17218, v9
	v_dual_add_f32 v9, v4, v8 :: v_dual_fmac_f32 v78, 0x32a5705f, v14
	v_add_f32_e32 v53, v53, v84
	s_delay_alu instid0(TRANS32_DEP_1)
	v_ldexp_f32 v52, v52, v83
	v_cndmask_b32_e32 v5, 0x7f800000, v43, vcc_lo
	v_cmp_ngt_f32_e32 vcc_lo, 0xc2ce8ed0, v11
	v_add_f32_e32 v50, v50, v78
	v_exp_f32_e32 v53, v53
	v_exp_f32_e32 v54, v54
	v_cvt_i32_f32_e32 v87, v87
	v_cndmask_b32_e32 v43, 0, v47, vcc_lo
	v_cmp_nlt_f32_e32 vcc_lo, 0x42b17218, v10
	v_add_f32_e32 v10, v5, v9
	v_exp_f32_e32 v50, v50
	v_ldexp_f32 v53, v53, v85
	v_exp_f32_e32 v55, v55
	v_cndmask_b32_e32 v8, 0x7f800000, v42, vcc_lo
	v_cmp_ngt_f32_e32 vcc_lo, 0xc2ce8ed0, v12
	v_cvt_i32_f32_e32 v89, v89
	v_ldexp_f32 v54, v54, v87
	v_ldexp_f32 v50, v50, v79
	v_cndmask_b32_e32 v42, 0, v48, vcc_lo
	v_cmp_nlt_f32_e32 vcc_lo, 0x42b17218, v11
	v_add_f32_e32 v11, v8, v10
	v_ldexp_f32 v55, v55, v89
	v_cndmask_b32_e32 v9, 0x7f800000, v43, vcc_lo
	v_cmp_ngt_f32_e32 vcc_lo, 0xc2ce8ed0, v13
	v_cndmask_b32_e32 v43, 0, v49, vcc_lo
	v_cmp_nlt_f32_e32 vcc_lo, 0x42b17218, v12
	s_delay_alu instid0(VALU_DEP_4) | instskip(SKIP_4) | instid1(VALU_DEP_4)
	v_add_f32_e32 v12, v9, v11
	v_cndmask_b32_e32 v10, 0x7f800000, v42, vcc_lo
	v_cmp_ngt_f32_e32 vcc_lo, 0xc2ce8ed0, v14
	v_cndmask_b32_e32 v42, 0, v50, vcc_lo
	v_cmp_nlt_f32_e32 vcc_lo, 0x42b17218, v13
	v_add_f32_e32 v13, v10, v12
	v_cndmask_b32_e32 v11, 0x7f800000, v43, vcc_lo
	v_cmp_ngt_f32_e32 vcc_lo, 0xc2ce8ed0, v15
	v_cndmask_b32_e32 v43, 0, v51, vcc_lo
	v_cmp_nlt_f32_e32 vcc_lo, 0x42b17218, v14
	s_delay_alu instid0(VALU_DEP_4) | instskip(SKIP_2) | instid1(VALU_DEP_2)
	v_add_f32_e32 v14, v11, v13
	v_cndmask_b32_e32 v12, 0x7f800000, v42, vcc_lo
	v_cmp_ngt_f32_e32 vcc_lo, 0xc2ce8ed0, v16
	v_dual_add_f32 v14, v12, v14 :: v_dual_cndmask_b32 v42, 0, v52, vcc_lo
	v_cmp_nlt_f32_e32 vcc_lo, 0x42b17218, v15
	v_cndmask_b32_e32 v13, 0x7f800000, v43, vcc_lo
	v_cmp_ngt_f32_e32 vcc_lo, 0xc2ce8ed0, v17
	s_delay_alu instid0(VALU_DEP_2)
	v_dual_add_f32 v14, v13, v14 :: v_dual_cndmask_b32 v15, 0, v53
	v_cmp_nlt_f32_e32 vcc_lo, 0x42b17218, v16
	v_cndmask_b32_e32 v16, 0x7f800000, v42, vcc_lo
	v_cmp_ngt_f32_e32 vcc_lo, 0xc2ce8ed0, v40
	v_cndmask_b32_e32 v42, 0, v54, vcc_lo
	v_cmp_nlt_f32_e32 vcc_lo, 0x42b17218, v17
	v_cndmask_b32_e32 v17, 0x7f800000, v15, vcc_lo
	v_cmp_ngt_f32_e32 vcc_lo, 0xc2ce8ed0, v41
	v_dual_add_f32 v15, v16, v14 :: v_dual_cndmask_b32 v43, 0, v55, vcc_lo
	v_cmp_nlt_f32_e32 vcc_lo, 0x42b17218, v40
	s_delay_alu instid0(VALU_DEP_2) | instskip(SKIP_2) | instid1(VALU_DEP_2)
	v_add_f32_e32 v40, v17, v15
	v_cndmask_b32_e32 v14, 0x7f800000, v42, vcc_lo
	v_cmp_nlt_f32_e32 vcc_lo, 0x42b17218, v41
	v_dual_add_f32 v40, v14, v40 :: v_dual_cndmask_b32 v15, 0x7f800000, v43
	s_delay_alu instid0(VALU_DEP_1)
	v_add_f32_e32 v40, v15, v40
	ds_bpermute_b32 v35, v35, v40
	s_wait_dscnt 0x0
	v_add_f32_e32 v35, v40, v35
	ds_bpermute_b32 v36, v36, v35
	s_wait_dscnt 0x0
	;; [unrolled: 3-line block ×5, first 2 shown]
	v_add_f32_e32 v35, v35, v36
	s_delay_alu instid0(VALU_DEP_1) | instskip(SKIP_1) | instid1(VALU_DEP_2)
	v_div_scale_f32 v36, null, v35, v35, 1.0
	v_div_scale_f32 v39, vcc_lo, 1.0, v35, 1.0
	v_rcp_f32_e32 v37, v36
	v_nop
	s_delay_alu instid0(TRANS32_DEP_1) | instskip(NEXT) | instid1(VALU_DEP_1)
	v_fma_f32 v38, -v36, v37, 1.0
	v_fmac_f32_e32 v37, v38, v37
	s_delay_alu instid0(VALU_DEP_1) | instskip(NEXT) | instid1(VALU_DEP_1)
	v_mul_f32_e32 v38, v39, v37
	v_fma_f32 v40, -v36, v38, v39
	s_delay_alu instid0(VALU_DEP_1) | instskip(NEXT) | instid1(VALU_DEP_1)
	v_fmac_f32_e32 v38, v40, v37
	v_fma_f32 v36, -v36, v38, v39
	s_delay_alu instid0(VALU_DEP_1) | instskip(NEXT) | instid1(VALU_DEP_1)
	v_div_fmas_f32 v36, v36, v37, v38
	v_div_fixup_f32 v36, v36, v35, 1.0
	s_delay_alu instid0(VALU_DEP_1)
	v_pk_mul_f32 v[14:15], v[14:15], v[36:37] op_sel_hi:[1,0]
	v_pk_mul_f32 v[16:17], v[16:17], v[36:37] op_sel_hi:[1,0]
	;; [unrolled: 1-line block ×8, first 2 shown]
	s_and_not1_b32 vcc_lo, exec_lo, s1
	s_cbranch_vccz .LBB9_5
	s_branch .LBB9_6
.LBB9_4:
                                        ; implicit-def: $vgpr15
                                        ; implicit-def: $vgpr17
                                        ; implicit-def: $vgpr13
                                        ; implicit-def: $vgpr11
                                        ; implicit-def: $vgpr9
                                        ; implicit-def: $vgpr5
                                        ; implicit-def: $vgpr7
                                        ; implicit-def: $vgpr1
.LBB9_5:
	s_wait_loadcnt 0xe
	v_dual_mul_f32 v0, 0xbfb8aa3b, v33 :: v_dual_mul_f32 v1, 0xbfb8aa3b, v32
	s_wait_loadcnt 0xc
	s_wait_xcnt 0x0
	v_dual_mul_f32 v4, 0xbfb8aa3b, v31 :: v_dual_mul_f32 v5, 0xbfb8aa3b, v30
	v_cmp_nlt_f32_e32 vcc_lo, 0x42ce8ed0, v33
	v_rndne_f32_e32 v6, v0
	v_fma_f32 v7, 0xbfb8aa3b, v33, -v0
	v_fma_f32 v9, 0xbfb8aa3b, v32, -v1
	v_rndne_f32_e32 v8, v1
	v_rndne_f32_e32 v10, v4
	s_delay_alu instid0(VALU_DEP_4) | instskip(NEXT) | instid1(VALU_DEP_4)
	v_dual_sub_f32 v0, v0, v6 :: v_dual_fmac_f32 v7, 0xb2a5705f, v33
	v_fmac_f32_e32 v9, 0xb2a5705f, v32
	v_cvt_i32_f32_e32 v6, v6
	v_fma_f32 v11, 0xbfb8aa3b, v31, -v4
	v_dual_sub_f32 v1, v1, v8 :: v_dual_sub_f32 v4, v4, v10
	v_add_f32_e32 v0, v0, v7
	v_cvt_i32_f32_e32 v8, v8
	v_rndne_f32_e32 v7, v5
	v_cvt_i32_f32_e32 v10, v10
	s_wait_loadcnt 0x6
	v_mul_f32_e32 v14, 0xbfb8aa3b, v24
	v_exp_f32_e32 v0, v0
	s_delay_alu instid0(VALU_DEP_1) | instskip(NEXT) | instid1(TRANS32_DEP_1)
	v_rndne_f32_e32 v15, v14
	v_ldexp_f32 v0, v0, v6
	s_delay_alu instid0(VALU_DEP_1) | instskip(NEXT) | instid1(VALU_DEP_1)
	v_dual_fmac_f32 v11, 0xb2a5705f, v31 :: v_dual_cndmask_b32 v0, 0, v0
	v_dual_add_f32 v1, v1, v9 :: v_dual_add_f32 v4, v4, v11
	v_cmp_nlt_f32_e32 vcc_lo, 0x42ce8ed0, v32
	v_fma_f32 v9, 0xbfb8aa3b, v30, -v5
	s_delay_alu instid0(VALU_DEP_3) | instskip(NEXT) | instid1(VALU_DEP_3)
	v_exp_f32_e32 v1, v1
	v_exp_f32_e32 v4, v4
	s_delay_alu instid0(TRANS32_DEP_2) | instskip(SKIP_1) | instid1(TRANS32_DEP_1)
	v_ldexp_f32 v1, v1, v8
	v_sub_f32_e32 v5, v5, v7
	v_ldexp_f32 v4, v4, v10
	v_mul_f32_e32 v10, 0xbfb8aa3b, v28
	v_cvt_i32_f32_e32 v7, v7
	v_cndmask_b32_e32 v1, 0, v1, vcc_lo
	v_cmp_ngt_f32_e32 vcc_lo, 0xc2b17218, v33
	s_delay_alu instid0(VALU_DEP_4)
	v_rndne_f32_e32 v11, v10
	v_mul_f32_e32 v6, 0xbfb8aa3b, v29
	v_cndmask_b32_e32 v0, 0x7f800000, v0, vcc_lo
	v_cmp_ngt_f32_e32 vcc_lo, 0xc2b17218, v32
	v_cndmask_b32_e32 v1, 0x7f800000, v1, vcc_lo
	v_cmp_nlt_f32_e32 vcc_lo, 0x42ce8ed0, v31
	v_dual_fmac_f32 v9, 0xb2a5705f, v30 :: v_dual_cndmask_b32 v4, 0, v4
	s_delay_alu instid0(VALU_DEP_1) | instskip(SKIP_1) | instid1(VALU_DEP_2)
	v_add_f32_e32 v5, v5, v9
	v_cmp_ngt_f32_e32 vcc_lo, 0xc2b17218, v31
	v_exp_f32_e32 v5, v5
	v_nop
	s_delay_alu instid0(TRANS32_DEP_1) | instskip(SKIP_3) | instid1(VALU_DEP_1)
	v_ldexp_f32 v5, v5, v7
	v_sub_f32_e32 v7, v10, v11
	v_rndne_f32_e32 v8, v6
	v_fma_f32 v9, 0xbfb8aa3b, v29, -v6
	v_dual_sub_f32 v6, v6, v8 :: v_dual_fmac_f32 v9, 0xb2a5705f, v29
	v_cvt_i32_f32_e32 v8, v8
	v_pk_add_f32 v[0:1], v[0:1], 1.0 op_sel_hi:[1,0]
	s_delay_alu instid0(VALU_DEP_3) | instskip(SKIP_1) | instid1(VALU_DEP_2)
	v_dual_add_f32 v6, v6, v9 :: v_dual_mul_f32 v9, 0xbfb8aa3b, v27
	v_fma_f32 v12, 0xbfb8aa3b, v28, -v10
	v_rndne_f32_e32 v10, v9
	s_delay_alu instid0(VALU_DEP_2) | instskip(NEXT) | instid1(VALU_DEP_1)
	v_fmac_f32_e32 v12, 0xb2a5705f, v28
	v_add_f32_e32 v7, v7, v12
	v_exp_f32_e32 v6, v6
	v_fma_f32 v12, 0xbfb8aa3b, v27, -v9
	s_delay_alu instid0(VALU_DEP_2) | instskip(NEXT) | instid1(VALU_DEP_1)
	v_exp_f32_e32 v7, v7
	v_fmac_f32_e32 v12, 0xb2a5705f, v27
	s_delay_alu instid0(TRANS32_DEP_2) | instskip(SKIP_4) | instid1(VALU_DEP_3)
	v_ldexp_f32 v6, v6, v8
	v_sub_f32_e32 v8, v9, v10
	v_cvt_i32_f32_e32 v9, v11
	v_mul_f32_e32 v11, 0xbfb8aa3b, v26
	v_cvt_i32_f32_e32 v10, v10
	v_ldexp_f32 v7, v7, v9
	s_delay_alu instid0(VALU_DEP_3) | instskip(SKIP_4) | instid1(VALU_DEP_2)
	v_rndne_f32_e32 v9, v11
	v_cndmask_b32_e32 v4, 0x7f800000, v4, vcc_lo
	v_cmp_nlt_f32_e32 vcc_lo, 0x42ce8ed0, v30
	v_cndmask_b32_e32 v5, 0, v5, vcc_lo
	v_cmp_ngt_f32_e32 vcc_lo, 0xc2b17218, v30
	v_cndmask_b32_e32 v5, 0x7f800000, v5, vcc_lo
	v_cmp_nlt_f32_e32 vcc_lo, 0x42ce8ed0, v29
	v_cndmask_b32_e32 v6, 0, v6, vcc_lo
	v_cmp_ngt_f32_e32 vcc_lo, 0xc2b17218, v29
	s_delay_alu instid0(VALU_DEP_2) | instskip(SKIP_3) | instid1(VALU_DEP_2)
	v_cndmask_b32_e32 v6, 0x7f800000, v6, vcc_lo
	v_cmp_nlt_f32_e32 vcc_lo, 0x42ce8ed0, v28
	v_dual_cndmask_b32 v7, 0, v7 :: v_dual_add_f32 v8, v8, v12
	v_cmp_ngt_f32_e32 vcc_lo, 0xc2b17218, v28
	v_exp_f32_e32 v8, v8
	v_nop
	s_delay_alu instid0(TRANS32_DEP_1)
	v_ldexp_f32 v8, v8, v10
	v_mul_f32_e32 v10, 0xbfb8aa3b, v25
	v_fma_f32 v12, 0xbfb8aa3b, v26, -v11
	v_sub_f32_e32 v11, v11, v9
	v_cvt_i32_f32_e32 v9, v9
	v_pk_add_f32 v[4:5], v[4:5], 1.0 op_sel_hi:[1,0]
	v_fma_f32 v13, 0xbfb8aa3b, v25, -v10
	v_fmac_f32_e32 v12, 0xb2a5705f, v26
	s_delay_alu instid0(VALU_DEP_3) | instskip(NEXT) | instid1(VALU_DEP_3)
	v_div_scale_f32 v30, null, v5, v5, 1.0
	v_fmac_f32_e32 v13, 0xb2a5705f, v25
	s_delay_alu instid0(VALU_DEP_3) | instskip(SKIP_3) | instid1(VALU_DEP_4)
	v_add_f32_e32 v11, v11, v12
	v_rndne_f32_e32 v12, v10
	v_cndmask_b32_e32 v7, 0x7f800000, v7, vcc_lo
	v_cmp_nlt_f32_e32 vcc_lo, 0x42ce8ed0, v27
	v_exp_f32_e32 v11, v11
	s_delay_alu instid0(VALU_DEP_3)
	v_sub_f32_e32 v10, v10, v12
	v_cvt_i32_f32_e32 v12, v12
	v_cndmask_b32_e32 v8, 0, v8, vcc_lo
	v_cmp_ngt_f32_e32 vcc_lo, 0xc2b17218, v27
	s_wait_loadcnt 0x5
	v_dual_add_f32 v10, v10, v13 :: v_dual_mul_f32 v13, 0xbfb8aa3b, v23
	v_fma_f32 v16, 0xbfb8aa3b, v24, -v14
	v_ldexp_f32 v9, v11, v9
	v_sub_f32_e32 v11, v14, v15
	s_delay_alu instid0(VALU_DEP_4) | instskip(SKIP_2) | instid1(VALU_DEP_1)
	v_exp_f32_e32 v10, v10
	v_rndne_f32_e32 v14, v13
	v_fmac_f32_e32 v16, 0xb2a5705f, v24
	v_add_f32_e32 v11, v11, v16
	s_delay_alu instid0(TRANS32_DEP_1) | instskip(NEXT) | instid1(VALU_DEP_4)
	v_ldexp_f32 v10, v10, v12
	v_sub_f32_e32 v12, v13, v14
	v_fma_f32 v16, 0xbfb8aa3b, v23, -v13
	v_cvt_i32_f32_e32 v13, v15
	v_exp_f32_e32 v11, v11
	s_wait_loadcnt 0x4
	v_mul_f32_e32 v15, 0xbfb8aa3b, v18
	v_cvt_i32_f32_e32 v14, v14
	v_fmac_f32_e32 v16, 0xb2a5705f, v23
	s_delay_alu instid0(TRANS32_DEP_1) | instskip(NEXT) | instid1(VALU_DEP_4)
	v_ldexp_f32 v11, v11, v13
	v_rndne_f32_e32 v13, v15
	v_cndmask_b32_e32 v8, 0x7f800000, v8, vcc_lo
	v_cmp_nlt_f32_e32 vcc_lo, 0x42ce8ed0, v26
	v_dual_add_f32 v12, v12, v16 :: v_dual_cndmask_b32 v9, 0, v9
	v_cmp_ngt_f32_e32 vcc_lo, 0xc2b17218, v26
	s_delay_alu instid0(VALU_DEP_2) | instskip(NEXT) | instid1(VALU_DEP_2)
	v_exp_f32_e32 v12, v12
	v_cndmask_b32_e32 v9, 0x7f800000, v9, vcc_lo
	v_cmp_nlt_f32_e32 vcc_lo, 0x42ce8ed0, v25
	s_delay_alu instid0(TRANS32_DEP_1) | instskip(SKIP_4) | instid1(VALU_DEP_3)
	v_ldexp_f32 v12, v12, v14
	s_wait_loadcnt 0x3
	v_mul_f32_e32 v14, 0xbfb8aa3b, v22
	v_cndmask_b32_e32 v10, 0, v10, vcc_lo
	v_cmp_ngt_f32_e32 vcc_lo, 0xc2b17218, v25
	v_fma_f32 v17, 0xbfb8aa3b, v22, -v14
	s_delay_alu instid0(VALU_DEP_3) | instskip(SKIP_1) | instid1(VALU_DEP_3)
	v_cndmask_b32_e32 v10, 0x7f800000, v10, vcc_lo
	v_cmp_nlt_f32_e32 vcc_lo, 0x42ce8ed0, v24
	v_fmac_f32_e32 v17, 0xb2a5705f, v22
	v_cndmask_b32_e32 v11, 0, v11, vcc_lo
	v_cmp_ngt_f32_e32 vcc_lo, 0xc2b17218, v24
	s_wait_loadcnt 0x2
	v_mul_f32_e32 v24, 0xbfb8aa3b, v21
	s_delay_alu instid0(VALU_DEP_3) | instskip(SKIP_1) | instid1(VALU_DEP_3)
	v_cndmask_b32_e32 v11, 0x7f800000, v11, vcc_lo
	v_cmp_nlt_f32_e32 vcc_lo, 0x42ce8ed0, v23
	v_rndne_f32_e32 v25, v24
	v_fma_f32 v26, 0xbfb8aa3b, v21, -v24
	v_cndmask_b32_e32 v12, 0, v12, vcc_lo
	v_fma_f32 v16, 0xbfb8aa3b, v18, -v15
	v_sub_f32_e32 v15, v15, v13
	v_cvt_i32_f32_e32 v13, v13
	v_cmp_ngt_f32_e32 vcc_lo, 0xc2b17218, v23
	v_pk_add_f32 v[8:9], v[8:9], 1.0 op_sel_hi:[1,0]
	v_fmac_f32_e32 v16, 0xb2a5705f, v18
	s_delay_alu instid0(VALU_DEP_1) | instskip(SKIP_1) | instid1(VALU_DEP_2)
	v_add_f32_e32 v15, v15, v16
	v_rndne_f32_e32 v16, v14
	v_exp_f32_e32 v15, v15
	s_delay_alu instid0(VALU_DEP_1) | instskip(SKIP_2) | instid1(TRANS32_DEP_1)
	v_sub_f32_e32 v14, v14, v16
	v_cvt_i32_f32_e32 v16, v16
	v_pk_add_f32 v[10:11], v[10:11], 1.0 op_sel_hi:[1,0]
	v_ldexp_f32 v13, v15, v13
	s_wait_loadcnt 0x0
	v_dual_sub_f32 v15, v24, v25 :: v_dual_mul_f32 v24, 0xbfb8aa3b, v19
	v_cvt_i32_f32_e32 v25, v25
	s_delay_alu instid0(VALU_DEP_2) | instskip(SKIP_1) | instid1(VALU_DEP_1)
	v_rndne_f32_e32 v27, v24
	v_dual_add_f32 v14, v14, v17 :: v_dual_mul_f32 v17, 0xbfb8aa3b, v20
	v_exp_f32_e32 v14, v14
	s_delay_alu instid0(VALU_DEP_1) | instskip(SKIP_2) | instid1(TRANS32_DEP_1)
	v_rndne_f32_e32 v23, v17
	v_cndmask_b32_e32 v12, 0x7f800000, v12, vcc_lo
	v_cmp_nlt_f32_e32 vcc_lo, 0x42ce8ed0, v18
	v_ldexp_f32 v14, v14, v16
	v_cndmask_b32_e32 v13, 0, v13, vcc_lo
	v_cmp_nlt_f32_e32 vcc_lo, 0x42ce8ed0, v22
	s_delay_alu instid0(VALU_DEP_3) | instskip(SKIP_2) | instid1(VALU_DEP_1)
	v_cndmask_b32_e32 v14, 0, v14, vcc_lo
	v_cmp_nlt_f32_e32 vcc_lo, 0x42ce8ed0, v21
	v_fmac_f32_e32 v26, 0xb2a5705f, v21
	v_add_f32_e32 v15, v15, v26
	v_fma_f32 v26, 0xbfb8aa3b, v20, -v17
	v_sub_f32_e32 v17, v17, v23
	v_cvt_i32_f32_e32 v23, v23
	s_delay_alu instid0(VALU_DEP_4) | instskip(NEXT) | instid1(VALU_DEP_3)
	v_exp_f32_e32 v15, v15
	v_fmac_f32_e32 v26, 0xb2a5705f, v20
	s_delay_alu instid0(VALU_DEP_1) | instskip(NEXT) | instid1(TRANS32_DEP_1)
	v_add_f32_e32 v17, v17, v26
	v_ldexp_f32 v15, v15, v25
	v_fma_f32 v28, 0xbfb8aa3b, v19, -v24
	v_sub_f32_e32 v16, v24, v27
	v_cvt_i32_f32_e32 v24, v27
	v_exp_f32_e32 v17, v17
	v_cndmask_b32_e32 v15, 0, v15, vcc_lo
	v_cmp_ngt_f32_e32 vcc_lo, 0xc2b17218, v22
	v_div_scale_f32 v22, null, v0, v0, 1.0
	v_div_scale_f32 v27, s1, 1.0, v1, 1.0
	v_cndmask_b32_e32 v14, 0x7f800000, v14, vcc_lo
	v_cmp_ngt_f32_e32 vcc_lo, 0xc2b17218, v21
	v_ldexp_f32 v17, v17, v23
	v_div_scale_f32 v25, null, v4, v4, 1.0
	v_cndmask_b32_e32 v15, 0x7f800000, v15, vcc_lo
	v_cmp_nlt_f32_e32 vcc_lo, 0x42ce8ed0, v20
	s_delay_alu instid0(VALU_DEP_4) | instskip(NEXT) | instid1(VALU_DEP_1)
	v_dual_fmac_f32 v28, 0xb2a5705f, v19 :: v_dual_cndmask_b32 v17, 0, v17
	v_add_f32_e32 v16, v16, v28
	v_cmp_nlt_f32_e32 vcc_lo, 0x42ce8ed0, v19
	v_rcp_f32_e32 v28, v25
	s_delay_alu instid0(VALU_DEP_2) | instskip(SKIP_1) | instid1(TRANS32_DEP_1)
	v_exp_f32_e32 v16, v16
	v_nop
	v_ldexp_f32 v16, v16, v24
	s_delay_alu instid0(VALU_DEP_1)
	v_cndmask_b32_e32 v21, 0, v16, vcc_lo
	v_cmp_ngt_f32_e32 vcc_lo, 0xc2b17218, v20
	v_rcp_f32_e32 v20, v22
	v_cndmask_b32_e32 v16, 0x7f800000, v17, vcc_lo
	v_cmp_ngt_f32_e32 vcc_lo, 0xc2b17218, v19
	v_cndmask_b32_e32 v17, 0x7f800000, v21, vcc_lo
	v_div_scale_f32 v21, null, v1, v1, 1.0
	v_cmp_ngt_f32_e32 vcc_lo, 0xc2b17218, v18
	s_delay_alu instid0(VALU_DEP_3) | instskip(NEXT) | instid1(VALU_DEP_3)
	v_pk_add_f32 v[18:19], v[16:17], 1.0 op_sel_hi:[1,0]
	v_rcp_f32_e32 v23, v21
	v_fma_f32 v16, -v22, v20, 1.0
	s_delay_alu instid0(VALU_DEP_1) | instskip(NEXT) | instid1(TRANS32_DEP_1)
	v_fmac_f32_e32 v20, v16, v20
	v_fma_f32 v16, -v21, v23, 1.0
	v_cndmask_b32_e32 v13, 0x7f800000, v13, vcc_lo
	v_div_scale_f32 v24, vcc_lo, 1.0, v0, 1.0
	s_delay_alu instid0(VALU_DEP_3) | instskip(SKIP_1) | instid1(VALU_DEP_3)
	v_fmac_f32_e32 v23, v16, v23
	v_pk_add_f32 v[16:17], v[6:7], 1.0 op_sel_hi:[1,0]
	v_mul_f32_e32 v26, v24, v20
	v_rcp_f32_e32 v7, v30
	v_fma_f32 v6, -v25, v28, 1.0
	v_mul_f32_e32 v31, v27, v23
	v_div_scale_f32 v32, null, v16, v16, 1.0
	v_fma_f32 v29, -v22, v26, v24
	s_delay_alu instid0(VALU_DEP_4) | instskip(SKIP_1) | instid1(VALU_DEP_4)
	v_fmac_f32_e32 v28, v6, v28
	v_div_scale_f32 v6, s2, 1.0, v4, 1.0
	v_rcp_f32_e32 v35, v32
	s_delay_alu instid0(VALU_DEP_3) | instskip(SKIP_4) | instid1(VALU_DEP_4)
	v_fmac_f32_e32 v26, v29, v20
	v_fma_f32 v29, -v21, v31, v27
	v_fma_f32 v33, -v30, v7, 1.0
	v_pk_add_f32 v[12:13], v[12:13], 1.0 op_sel_hi:[1,0]
	v_pk_add_f32 v[14:15], v[14:15], 1.0 op_sel_hi:[1,0]
	v_dual_fma_f32 v22, -v22, v26, v24 :: v_dual_fmac_f32 v31, v29, v23
	s_delay_alu instid0(VALU_DEP_4) | instskip(SKIP_2) | instid1(VALU_DEP_4)
	v_dual_mul_f32 v24, v6, v28 :: v_dual_fmac_f32 v7, v33, v7
	v_div_scale_f32 v29, s3, 1.0, v5, 1.0
	v_fma_f32 v33, -v32, v35, 1.0
	v_div_fmas_f32 v20, v22, v20, v26
	s_mov_b32 vcc_lo, s1
	s_delay_alu instid0(VALU_DEP_3) | instskip(NEXT) | instid1(VALU_DEP_3)
	v_mul_f32_e32 v26, v29, v7
	v_fmac_f32_e32 v35, v33, v35
	v_fma_f32 v22, -v25, v24, v6
	v_fma_f32 v21, -v21, v31, v27
	v_div_scale_f32 v33, null, v17, v17, 1.0
	v_div_scale_f32 v27, s4, 1.0, v16, 1.0
	s_delay_alu instid0(VALU_DEP_4) | instskip(NEXT) | instid1(VALU_DEP_4)
	v_fmac_f32_e32 v24, v22, v28
	v_div_fmas_f32 v21, v21, v23, v31
	s_delay_alu instid0(VALU_DEP_4) | instskip(NEXT) | instid1(VALU_DEP_3)
	v_rcp_f32_e32 v23, v33
	v_dual_fma_f32 v22, -v30, v26, v29 :: v_dual_mul_f32 v31, v27, v35
	v_div_fixup_f32 v0, v20, v0, 1.0
	s_delay_alu instid0(VALU_DEP_3) | instskip(SKIP_2) | instid1(TRANS32_DEP_1)
	v_div_fixup_f32 v1, v21, v1, 1.0
	v_fma_f32 v6, -v25, v24, v6
	s_mov_b32 vcc_lo, s2
	v_fma_f32 v21, -v33, v23, 1.0
	v_fma_f32 v20, -v32, v31, v27
	s_delay_alu instid0(VALU_DEP_3) | instskip(SKIP_1) | instid1(VALU_DEP_3)
	v_div_fmas_f32 v6, v6, v28, v24
	s_mov_b32 vcc_lo, s3
	v_fmac_f32_e32 v23, v21, v23
	v_div_scale_f32 v21, s1, 1.0, v17, 1.0
	v_fmac_f32_e32 v31, v20, v35
	v_div_fixup_f32 v6, v6, v4, 1.0
	s_delay_alu instid0(VALU_DEP_3) | instskip(SKIP_2) | instid1(VALU_DEP_3)
	v_mul_f32_e32 v25, v21, v23
	v_fmac_f32_e32 v26, v22, v7
	v_div_scale_f32 v22, null, v8, v8, 1.0
	v_fma_f32 v28, -v33, v25, v21
	s_delay_alu instid0(VALU_DEP_3) | instskip(NEXT) | instid1(VALU_DEP_3)
	v_fma_f32 v24, -v30, v26, v29
	v_rcp_f32_e32 v20, v22
	v_div_scale_f32 v29, s2, 1.0, v8, 1.0
	v_div_scale_f32 v30, s3, 1.0, v9, 1.0
	s_delay_alu instid0(VALU_DEP_3) | instskip(SKIP_1) | instid1(TRANS32_DEP_1)
	v_div_fmas_f32 v7, v24, v7, v26
	s_mov_b32 vcc_lo, s4
	v_fma_f32 v26, -v22, v20, 1.0
	s_delay_alu instid0(VALU_DEP_2) | instskip(NEXT) | instid1(VALU_DEP_2)
	v_div_fixup_f32 v7, v7, v5, 1.0
	v_dual_fmac_f32 v20, v26, v20 :: v_dual_fmac_f32 v25, v28, v23
	v_fma_f32 v24, -v32, v31, v27
	v_div_scale_f32 v27, null, v9, v9, 1.0
	v_div_scale_f32 v32, null, v11, v11, 1.0
	s_delay_alu instid0(VALU_DEP_2) | instskip(SKIP_1) | instid1(TRANS32_DEP_1)
	v_rcp_f32_e32 v26, v27
	v_nop
	v_fma_f32 v5, -v27, v26, 1.0
	s_delay_alu instid0(VALU_DEP_1) | instskip(SKIP_3) | instid1(VALU_DEP_2)
	v_fmac_f32_e32 v26, v5, v26
	v_fma_f32 v21, -v33, v25, v21
	v_div_fmas_f32 v24, v24, v35, v31
	s_mov_b32 vcc_lo, s1
	v_div_fmas_f32 v5, v21, v23, v25
	s_delay_alu instid0(VALU_DEP_2) | instskip(SKIP_4) | instid1(VALU_DEP_3)
	v_div_fixup_f32 v4, v24, v16, 1.0
	v_mul_f32_e32 v16, v29, v20
	v_div_scale_f32 v24, null, v10, v10, 1.0
	v_mul_f32_e32 v21, v30, v26
	v_rcp_f32_e32 v25, v32
	v_fma_f32 v28, -v22, v16, v29
	s_delay_alu instid0(VALU_DEP_3) | instskip(SKIP_2) | instid1(VALU_DEP_2)
	v_rcp_f32_e32 v31, v24
	v_div_fixup_f32 v5, v5, v17, 1.0
	s_mov_b32 vcc_lo, s2
	v_fmac_f32_e32 v16, v28, v20
	s_delay_alu instid0(TRANS32_DEP_2) | instskip(NEXT) | instid1(TRANS32_DEP_1)
	v_fma_f32 v28, -v32, v25, 1.0
	v_fma_f32 v23, -v24, v31, 1.0
	s_delay_alu instid0(VALU_DEP_3) | instskip(NEXT) | instid1(VALU_DEP_2)
	v_dual_fma_f32 v17, -v22, v16, v29 :: v_dual_fma_f32 v22, -v27, v21, v30
	v_dual_fmac_f32 v25, v28, v25 :: v_dual_fmac_f32 v31, v23, v31
	v_div_scale_f32 v23, s1, 1.0, v10, 1.0
	s_delay_alu instid0(VALU_DEP_3) | instskip(SKIP_1) | instid1(VALU_DEP_3)
	v_fmac_f32_e32 v21, v22, v26
	v_div_scale_f32 v22, null, v12, v12, 1.0
	v_mul_f32_e32 v29, v23, v31
	v_div_scale_f32 v28, s4, 1.0, v11, 1.0
	s_delay_alu instid0(VALU_DEP_3) | instskip(SKIP_1) | instid1(VALU_DEP_3)
	v_rcp_f32_e32 v33, v22
	v_div_fmas_f32 v16, v17, v20, v16
	v_fma_f32 v20, -v24, v29, v23
	v_fma_f32 v17, -v27, v21, v30
	v_mul_f32_e32 v27, v28, v25
	s_mov_b32 vcc_lo, s3
	v_div_fixup_f32 v8, v16, v8, 1.0
	v_fma_f32 v30, -v22, v33, 1.0
	v_fmac_f32_e32 v29, v20, v31
	v_div_fmas_f32 v17, v17, v26, v21
	v_fma_f32 v20, -v32, v27, v28
	v_div_scale_f32 v21, s2, 1.0, v12, 1.0
	v_fmac_f32_e32 v33, v30, v33
	s_delay_alu instid0(VALU_DEP_4) | instskip(NEXT) | instid1(VALU_DEP_4)
	v_div_fixup_f32 v9, v17, v9, 1.0
	v_fmac_f32_e32 v27, v20, v25
	v_fma_f32 v16, -v24, v29, v23
	s_mov_b32 vcc_lo, s1
	v_mul_f32_e32 v17, v21, v33
	v_div_scale_f32 v23, null, v13, v13, 1.0
	v_fma_f32 v20, -v32, v27, v28
	v_div_fmas_f32 v16, v16, v31, v29
	s_delay_alu instid0(VALU_DEP_4) | instskip(SKIP_3) | instid1(VALU_DEP_3)
	v_fma_f32 v24, -v22, v17, v21
	s_mov_b32 vcc_lo, s4
	v_div_scale_f32 v26, null, v18, v18, 1.0
	v_div_fmas_f32 v20, v20, v25, v27
	v_fmac_f32_e32 v17, v24, v33
	v_rcp_f32_e32 v25, v23
	v_div_scale_f32 v24, null, v14, v14, 1.0
	v_div_fixup_f32 v10, v16, v10, 1.0
	s_delay_alu instid0(VALU_DEP_3) | instskip(SKIP_1) | instid1(VALU_DEP_4)
	v_fma_f32 v16, -v22, v17, v21
	v_div_scale_f32 v22, null, v15, v15, 1.0
	v_rcp_f32_e32 v21, v24
	v_div_fixup_f32 v11, v20, v11, 1.0
	v_fma_f32 v20, -v23, v25, 1.0
	s_delay_alu instid0(VALU_DEP_3) | instskip(SKIP_2) | instid1(VALU_DEP_2)
	v_rcp_f32_e32 v27, v22
	s_mov_b32 vcc_lo, s2
	v_div_scale_f32 v29, null, v19, v19, 1.0
	v_fmac_f32_e32 v25, v20, v25
	v_fma_f32 v20, -v24, v21, 1.0
	v_div_scale_f32 v28, s1, 1.0, v14, 1.0
	s_delay_alu instid0(TRANS32_DEP_1) | instskip(SKIP_1) | instid1(VALU_DEP_3)
	v_fma_f32 v30, -v22, v27, 1.0
	v_rcp_f32_e32 v35, v29
	v_fmac_f32_e32 v21, v20, v21
	v_rcp_f32_e32 v20, v26
	s_delay_alu instid0(VALU_DEP_2) | instskip(SKIP_3) | instid1(VALU_DEP_3)
	v_fmac_f32_e32 v27, v30, v27
	v_div_fmas_f32 v16, v16, v33, v17
	v_div_scale_f32 v17, vcc_lo, 1.0, v13, 1.0
	v_div_scale_f32 v30, s2, 1.0, v15, 1.0
	v_div_fixup_f32 v12, v16, v12, 1.0
	s_delay_alu instid0(VALU_DEP_3) | instskip(SKIP_2) | instid1(VALU_DEP_2)
	v_mul_f32_e32 v16, v17, v25
	v_fma_f32 v33, -v26, v20, 1.0
	v_fma_f32 v36, -v29, v35, 1.0
	v_dual_mul_f32 v37, v30, v27 :: v_dual_fmac_f32 v20, v33, v20
	s_delay_alu instid0(VALU_DEP_4) | instskip(SKIP_1) | instid1(VALU_DEP_2)
	v_dual_fma_f32 v31, -v23, v16, v17 :: v_dual_mul_f32 v32, v28, v21
	v_div_scale_f32 v33, s3, 1.0, v18, 1.0
	v_dual_fmac_f32 v35, v36, v35 :: v_dual_fmac_f32 v16, v31, v25
	s_delay_alu instid0(VALU_DEP_3) | instskip(NEXT) | instid1(VALU_DEP_3)
	v_fma_f32 v31, -v24, v32, v28
	v_mul_f32_e32 v38, v33, v20
	v_div_scale_f32 v36, s4, 1.0, v19, 1.0
	s_delay_alu instid0(VALU_DEP_4) | instskip(NEXT) | instid1(VALU_DEP_3)
	v_dual_fma_f32 v17, -v23, v16, v17 :: v_dual_fma_f32 v23, -v22, v37, v30
	v_dual_fmac_f32 v32, v31, v21 :: v_dual_fma_f32 v31, -v26, v38, v33
	s_delay_alu instid0(VALU_DEP_3) | instskip(NEXT) | instid1(VALU_DEP_3)
	v_mul_f32_e32 v39, v36, v35
	v_div_fmas_f32 v16, v17, v25, v16
	s_delay_alu instid0(VALU_DEP_3) | instskip(NEXT) | instid1(VALU_DEP_3)
	v_dual_fmac_f32 v37, v23, v27 :: v_dual_fma_f32 v17, -v24, v32, v28
	v_dual_fmac_f32 v38, v31, v20 :: v_dual_fma_f32 v23, -v29, v39, v36
	s_mov_b32 vcc_lo, s1
	s_delay_alu instid0(VALU_DEP_3) | instskip(NEXT) | instid1(VALU_DEP_3)
	v_div_fixup_f32 v13, v16, v13, 1.0
	v_div_fmas_f32 v17, v17, v21, v32
	s_delay_alu instid0(VALU_DEP_3) | instskip(SKIP_2) | instid1(VALU_DEP_3)
	v_dual_fma_f32 v21, -v22, v37, v30 :: v_dual_fmac_f32 v39, v23, v35
	v_fma_f32 v22, -v26, v38, v33
	s_mov_b32 vcc_lo, s2
	v_div_fixup_f32 v16, v17, v14, 1.0
	s_delay_alu instid0(VALU_DEP_3)
	v_div_fmas_f32 v21, v21, v27, v37
	v_fma_f32 v23, -v29, v39, v36
	s_mov_b32 vcc_lo, s3
	v_div_fmas_f32 v20, v22, v20, v38
	s_mov_b32 vcc_lo, s4
	v_div_fixup_f32 v17, v21, v15, 1.0
	v_div_fmas_f32 v22, v23, v35, v39
	s_delay_alu instid0(VALU_DEP_3) | instskip(NEXT) | instid1(VALU_DEP_2)
	v_div_fixup_f32 v14, v20, v18, 1.0
	v_div_fixup_f32 v15, v22, v19, 1.0
.LBB9_6:
	s_wait_loadcnt 0xe
	v_dual_mov_b32 v33, v0 :: v_dual_mov_b32 v32, v1
	s_wait_loadcnt 0xc
	v_dual_mov_b32 v31, v6 :: v_dual_mov_b32 v30, v7
	;; [unrolled: 2-line block ×8, first 2 shown]
.LBB9_7:
	s_lshr_b32 s1, s5, 8
	s_cmp_gt_i32 s25, 0
	s_mov_b32 s2, 0
	s_cbranch_scc1 .LBB9_9
; %bb.8:
	s_bitcmp1_b32 s1, 0
	s_cselect_b32 s10, -1, 0
	s_branch .LBB9_10
.LBB9_9:
	s_mov_b32 s2, -1
                                        ; implicit-def: $sgpr10
.LBB9_10:
	v_dual_add_nc_u32 v86, 32, v71 :: v_dual_add_nc_u32 v85, 64, v71
	v_add_nc_u32_e32 v84, 0x60, v71
	v_add_nc_u32_e32 v83, 0x80, v71
	;; [unrolled: 1-line block ×13, first 2 shown]
	v_mbcnt_lo_u32_b32 v35, -1, 0
	s_and_not1_b32 vcc_lo, exec_lo, s2
	s_mov_b32 s9, 0
	s_cbranch_vccnz .LBB9_37
; %bb.11:
	s_clause 0xf
	global_load_b32 v60, v71, s[22:23] offset:1024 scale_offset
	global_load_b32 v61, v71, s[22:23] offset:1152 scale_offset
	;; [unrolled: 1-line block ×14, first 2 shown]
	global_load_b32 v68, v71, s[22:23] scale_offset
	global_load_b32 v69, v71, s[22:23] offset:128 scale_offset
	s_wait_loadcnt 0x1f
	v_cmp_o_f32_e32 vcc_lo, v33, v33
	v_dual_mov_b32 v16, 0 :: v_dual_bitop2_b32 v1, 16, v35 bitop3:0x14
	v_lshl_add_u64 v[52:53], v[2:3], 2, s[20:21]
	s_wait_xcnt 0x10
	v_xor_b32_e32 v5, 1, v35
	v_cndmask_b32_e32 v36, 0xff7fffff, v33, vcc_lo
	s_wait_loadcnt 0x1e
	v_cmp_o_f32_e32 vcc_lo, v32, v32
	v_xor_b32_e32 v4, 2, v35
	s_bitcmp1_b32 s1, 0
	v_mov_b32_e32 v0, 0
	s_cselect_b32 s10, -1, 0
	v_cndmask_b32_e32 v37, 0xff7fffff, v32, vcc_lo
	s_wait_loadcnt 0x1d
	v_cmp_o_f32_e32 vcc_lo, v31, v31
	v_dual_mov_b32 v7, v16 :: v_dual_mov_b32 v6, v16
	v_dual_mov_b32 v9, v16 :: v_dual_mov_b32 v8, v16
	v_cndmask_b32_e32 v38, 0xff7fffff, v31, vcc_lo
	s_wait_loadcnt 0x1c
	v_cmp_o_f32_e32 vcc_lo, v30, v30
	v_dual_mov_b32 v11, v16 :: v_dual_mov_b32 v10, v16
	v_dual_mov_b32 v13, v16 :: v_dual_mov_b32 v12, v16
	v_cndmask_b32_e32 v39, 0xff7fffff, v30, vcc_lo
	s_wait_loadcnt 0x1b
	v_cmp_o_f32_e32 vcc_lo, v29, v29
	v_mov_b32_e32 v14, v16
	v_cndmask_b32_e32 v40, 0xff7fffff, v29, vcc_lo
	s_wait_loadcnt 0x1a
	v_cmp_o_f32_e32 vcc_lo, v28, v28
	v_cndmask_b32_e32 v41, 0xff7fffff, v28, vcc_lo
	s_wait_loadcnt 0x19
	v_cmp_o_f32_e32 vcc_lo, v27, v27
	;; [unrolled: 3-line block ×11, first 2 shown]
	v_cndmask_b32_e32 v51, 0xff7fffff, v19, vcc_lo
	v_cmp_gt_i32_e32 vcc_lo, 32, v1
	v_dual_cndmask_b32 v15, v35, v1, vcc_lo :: v_dual_bitop2_b32 v2, 8, v35 bitop3:0x14
	s_delay_alu instid0(VALU_DEP_1) | instskip(SKIP_1) | instid1(VALU_DEP_3)
	v_cmp_gt_i32_e32 vcc_lo, 32, v2
	v_dual_mov_b32 v1, v16 :: v_dual_bitop2_b32 v3, 4, v35 bitop3:0x14
	v_dual_cndmask_b32 v18, v35, v2 :: v_dual_lshlrev_b32 v17, 2, v15
	s_delay_alu instid0(VALU_DEP_2) | instskip(SKIP_1) | instid1(VALU_DEP_3)
	v_cmp_gt_i32_e32 vcc_lo, 32, v3
	v_dual_mov_b32 v2, v16 :: v_dual_mov_b32 v15, v16
	v_dual_lshlrev_b32 v87, 2, v18 :: v_dual_cndmask_b32 v19, v35, v3, vcc_lo
	v_cmp_gt_i32_e32 vcc_lo, 32, v4
	v_dual_mov_b32 v3, v16 :: v_dual_cndmask_b32 v20, v35, v4
	v_cmp_gt_i32_e32 vcc_lo, 32, v5
	s_delay_alu instid0(VALU_DEP_4) | instskip(NEXT) | instid1(VALU_DEP_3)
	v_dual_mov_b32 v4, v16 :: v_dual_lshlrev_b32 v88, 2, v19
	v_dual_lshlrev_b32 v89, 2, v20 :: v_dual_cndmask_b32 v21, v35, v5, vcc_lo
	s_delay_alu instid0(VALU_DEP_1)
	v_dual_mov_b32 v5, v16 :: v_dual_lshlrev_b32 v90, 2, v21
	s_wait_loadcnt 0xe
	v_pk_add_f32 v[60:61], v[44:45], v[60:61]
	s_wait_loadcnt 0xc
	v_pk_add_f32 v[58:59], v[46:47], v[58:59]
	;; [unrolled: 2-line block ×8, first 2 shown]
	s_branch .LBB9_13
.LBB9_12:                               ;   in Loop: Header=BB9_13 Depth=1
	s_wait_xcnt 0x0
	s_or_b32 exec_lo, exec_lo, s1
	s_wait_dscnt 0x0
	v_mov_b64_e32 v[32:33], v[14:15]
	v_mov_b64_e32 v[18:19], v[0:1]
	s_and_b32 s1, s9, 31
	s_lshr_b32 m0, s9, 5
	v_cmp_eq_u32_e32 vcc_lo, s1, v71
	v_add_nc_u64_e32 v[52:53], 4, v[52:53]
	v_mov_b64_e32 v[30:31], v[12:13]
	v_mov_b64_e32 v[28:29], v[10:11]
	v_mov_b64_e32 v[26:27], v[8:9]
	v_mov_b64_e32 v[24:25], v[6:7]
	v_mov_b64_e32 v[22:23], v[4:5]
	v_mov_b64_e32 v[20:21], v[2:3]
	v_movreld_b32_e32 v18, v91
	v_dual_cndmask_b32 v15, v15, v33 :: v_dual_cndmask_b32 v14, v14, v32
	v_dual_cndmask_b32 v13, v13, v31 :: v_dual_cndmask_b32 v12, v12, v30
	;; [unrolled: 1-line block ×8, first 2 shown]
	s_add_co_i32 s9, s9, 1
	s_delay_alu instid0(SALU_CYCLE_1)
	s_cmp_eq_u32 s25, s9
	s_cbranch_scc1 .LBB9_38
.LBB9_13:                               ; =>This Inner Loop Header: Depth=1
	s_delay_alu instid0(VALU_DEP_1) | instskip(SKIP_2) | instid1(VALU_DEP_2)
	v_cmp_gt_f32_e32 vcc_lo, v69, v68
	v_dual_cndmask_b32 v18, v68, v69, vcc_lo :: v_dual_cndmask_b32 v20, v71, v86, vcc_lo
	v_cndmask_b32_e32 v19, v36, v37, vcc_lo
	v_cmp_gt_f32_e64 s1, v66, v18
	s_delay_alu instid0(VALU_DEP_1) | instskip(NEXT) | instid1(VALU_DEP_3)
	v_cndmask_b32_e64 v18, v18, v66, s1
	v_dual_cndmask_b32 v19, v19, v38, s1 :: v_dual_cndmask_b32 v20, v20, v85, s1
	s_delay_alu instid0(VALU_DEP_2) | instskip(NEXT) | instid1(VALU_DEP_1)
	v_cmp_gt_f32_e64 s2, v67, v18
	v_cndmask_b32_e64 v18, v18, v67, s2
	s_delay_alu instid0(VALU_DEP_3) | instskip(NEXT) | instid1(VALU_DEP_2)
	v_dual_cndmask_b32 v19, v19, v39, s2 :: v_dual_cndmask_b32 v20, v20, v84, s2
	v_cmp_gt_f32_e64 s3, v64, v18
	s_delay_alu instid0(VALU_DEP_1) | instskip(NEXT) | instid1(VALU_DEP_3)
	v_cndmask_b32_e64 v18, v18, v64, s3
	v_dual_cndmask_b32 v19, v19, v40, s3 :: v_dual_cndmask_b32 v20, v20, v83, s3
	s_delay_alu instid0(VALU_DEP_2) | instskip(NEXT) | instid1(VALU_DEP_1)
	v_cmp_gt_f32_e64 s4, v65, v18
	v_dual_cndmask_b32 v18, v18, v65, s4 :: v_dual_cndmask_b32 v20, v20, v82, s4
	s_delay_alu instid0(VALU_DEP_3) | instskip(NEXT) | instid1(VALU_DEP_2)
	v_cndmask_b32_e64 v19, v19, v41, s4
	v_cmp_gt_f32_e64 s5, v62, v18
	s_delay_alu instid0(VALU_DEP_1) | instskip(NEXT) | instid1(VALU_DEP_1)
	v_cndmask_b32_e64 v18, v18, v62, s5
	v_cmp_gt_f32_e64 s6, v63, v18
	s_delay_alu instid0(VALU_DEP_1) | instskip(NEXT) | instid1(VALU_DEP_1)
	;; [unrolled: 3-line block ×4, first 2 shown]
	v_cndmask_b32_e64 v18, v18, v61, s8
	v_cmp_gt_f32_e32 vcc_lo, v58, v18
	v_cndmask_b32_e32 v18, v18, v58, vcc_lo
	s_delay_alu instid0(VALU_DEP_1) | instskip(NEXT) | instid1(VALU_DEP_1)
	v_cmp_gt_f32_e64 s1, v59, v18
	v_dual_cndmask_b32 v19, v19, v42, s5 :: v_dual_cndmask_b32 v18, v18, v59, s1
	s_delay_alu instid0(VALU_DEP_1) | instskip(NEXT) | instid1(VALU_DEP_2)
	v_dual_cndmask_b32 v20, v20, v81, s5 :: v_dual_cndmask_b32 v19, v19, v43, s6
	v_cmp_gt_f32_e64 s2, v56, v18
	s_delay_alu instid0(VALU_DEP_2) | instskip(NEXT) | instid1(VALU_DEP_1)
	v_cndmask_b32_e64 v19, v19, v44, s7
	v_dual_cndmask_b32 v20, v20, v80, s6 :: v_dual_cndmask_b32 v19, v19, v45, s8
	s_delay_alu instid0(VALU_DEP_1) | instskip(NEXT) | instid1(VALU_DEP_1)
	v_dual_cndmask_b32 v20, v20, v79, s7 :: v_dual_cndmask_b32 v18, v18, v56, s2
	v_cndmask_b32_e64 v20, v20, v78, s8
	s_delay_alu instid0(VALU_DEP_2) | instskip(NEXT) | instid1(VALU_DEP_1)
	v_cmp_gt_f32_e64 s3, v57, v18
	v_dual_cndmask_b32 v19, v19, v46, vcc_lo :: v_dual_cndmask_b32 v18, v18, v57, s3
	s_delay_alu instid0(VALU_DEP_1) | instskip(NEXT) | instid1(VALU_DEP_2)
	v_dual_cndmask_b32 v20, v20, v77, vcc_lo :: v_dual_cndmask_b32 v19, v19, v47, s1
	v_cmp_gt_f32_e32 vcc_lo, v54, v18
	s_delay_alu instid0(VALU_DEP_2) | instskip(NEXT) | instid1(VALU_DEP_1)
	v_dual_cndmask_b32 v20, v20, v76, s1 :: v_dual_cndmask_b32 v18, v18, v54, vcc_lo
	v_dual_cndmask_b32 v19, v19, v48, s2 :: v_dual_cndmask_b32 v20, v20, v75, s2
	s_delay_alu instid0(VALU_DEP_2) | instskip(NEXT) | instid1(VALU_DEP_2)
	v_cmp_gt_f32_e64 s1, v55, v18
	v_dual_cndmask_b32 v19, v19, v49, s3 :: v_dual_cndmask_b32 v20, v20, v74, s3
	s_mov_b32 s3, exec_lo
	s_delay_alu instid0(VALU_DEP_1) | instskip(NEXT) | instid1(VALU_DEP_1)
	v_dual_cndmask_b32 v21, v19, v50, vcc_lo :: v_dual_cndmask_b32 v19, v18, v55, s1
	v_dual_cndmask_b32 v18, v20, v73, vcc_lo :: v_dual_cndmask_b32 v91, v21, v51, s1
	ds_bpermute_b32 v20, v17, v19
	v_cndmask_b32_e64 v18, v18, v72, s1
	ds_bpermute_b32 v22, v17, v91
	ds_bpermute_b32 v21, v17, v18
	s_wait_dscnt 0x2
	v_cmp_lt_f32_e64 s2, v19, v20
	v_cmpx_nlt_f32_e32 v19, v20
	s_cbranch_execz .LBB9_15
; %bb.14:                               ;   in Loop: Header=BB9_13 Depth=1
	v_cmp_eq_f32_e32 vcc_lo, v19, v20
	s_wait_dscnt 0x0
	v_cmp_lt_i32_e64 s1, v21, v18
	s_and_not1_b32 s2, s2, exec_lo
	s_and_b32 s1, vcc_lo, s1
	s_delay_alu instid0(SALU_CYCLE_1) | instskip(NEXT) | instid1(SALU_CYCLE_1)
	s_and_b32 s1, s1, exec_lo
	s_or_b32 s2, s2, s1
.LBB9_15:                               ;   in Loop: Header=BB9_13 Depth=1
	s_or_b32 exec_lo, exec_lo, s3
	s_and_saveexec_b32 s1, s2
	s_cbranch_execz .LBB9_17
; %bb.16:                               ;   in Loop: Header=BB9_13 Depth=1
	s_wait_dscnt 0x1
	v_dual_mov_b32 v19, v20 :: v_dual_mov_b32 v91, v22
	s_wait_dscnt 0x0
	v_mov_b32_e32 v18, v21
.LBB9_17:                               ;   in Loop: Header=BB9_13 Depth=1
	s_or_b32 exec_lo, exec_lo, s1
	s_wait_dscnt 0x1
	ds_bpermute_b32 v22, v87, v19
	s_wait_dscnt 0x1
	ds_bpermute_b32 v21, v87, v91
	ds_bpermute_b32 v20, v87, v18
	s_mov_b32 s3, exec_lo
	s_wait_dscnt 0x2
	v_cmp_lt_f32_e64 s2, v19, v22
	v_cmpx_nlt_f32_e32 v19, v22
	s_cbranch_execz .LBB9_19
; %bb.18:                               ;   in Loop: Header=BB9_13 Depth=1
	v_cmp_eq_f32_e32 vcc_lo, v19, v22
	s_wait_dscnt 0x0
	v_cmp_lt_i32_e64 s1, v20, v18
	s_and_not1_b32 s2, s2, exec_lo
	s_and_b32 s1, vcc_lo, s1
	s_delay_alu instid0(SALU_CYCLE_1) | instskip(NEXT) | instid1(SALU_CYCLE_1)
	s_and_b32 s1, s1, exec_lo
	s_or_b32 s2, s2, s1
.LBB9_19:                               ;   in Loop: Header=BB9_13 Depth=1
	s_or_b32 exec_lo, exec_lo, s3
	s_and_saveexec_b32 s1, s2
	s_cbranch_execz .LBB9_21
; %bb.20:                               ;   in Loop: Header=BB9_13 Depth=1
	s_wait_dscnt 0x1
	v_dual_mov_b32 v19, v22 :: v_dual_mov_b32 v91, v21
	s_wait_dscnt 0x0
	v_mov_b32_e32 v18, v20
.LBB9_21:                               ;   in Loop: Header=BB9_13 Depth=1
	s_or_b32 exec_lo, exec_lo, s1
	ds_bpermute_b32 v22, v88, v19
	s_wait_dscnt 0x2
	ds_bpermute_b32 v21, v88, v91
	s_wait_dscnt 0x2
	ds_bpermute_b32 v20, v88, v18
	s_mov_b32 s3, exec_lo
	s_wait_dscnt 0x2
	v_cmp_lt_f32_e64 s2, v19, v22
	v_cmpx_nlt_f32_e32 v19, v22
	s_cbranch_execz .LBB9_23
; %bb.22:                               ;   in Loop: Header=BB9_13 Depth=1
	v_cmp_eq_f32_e32 vcc_lo, v19, v22
	s_wait_dscnt 0x0
	v_cmp_lt_i32_e64 s1, v20, v18
	s_and_not1_b32 s2, s2, exec_lo
	s_and_b32 s1, vcc_lo, s1
	s_delay_alu instid0(SALU_CYCLE_1) | instskip(NEXT) | instid1(SALU_CYCLE_1)
	s_and_b32 s1, s1, exec_lo
	s_or_b32 s2, s2, s1
.LBB9_23:                               ;   in Loop: Header=BB9_13 Depth=1
	s_or_b32 exec_lo, exec_lo, s3
	s_and_saveexec_b32 s1, s2
	s_cbranch_execz .LBB9_25
; %bb.24:                               ;   in Loop: Header=BB9_13 Depth=1
	s_wait_dscnt 0x1
	v_dual_mov_b32 v19, v22 :: v_dual_mov_b32 v91, v21
	s_wait_dscnt 0x0
	v_mov_b32_e32 v18, v20
.LBB9_25:                               ;   in Loop: Header=BB9_13 Depth=1
	s_or_b32 exec_lo, exec_lo, s1
	ds_bpermute_b32 v22, v89, v19
	s_wait_dscnt 0x2
	ds_bpermute_b32 v21, v89, v91
	s_wait_dscnt 0x2
	ds_bpermute_b32 v20, v89, v18
	s_mov_b32 s3, exec_lo
	s_wait_dscnt 0x2
	v_cmp_lt_f32_e64 s2, v19, v22
	v_cmpx_nlt_f32_e32 v19, v22
	s_cbranch_execz .LBB9_27
; %bb.26:                               ;   in Loop: Header=BB9_13 Depth=1
	v_cmp_eq_f32_e32 vcc_lo, v19, v22
	s_wait_dscnt 0x0
	v_cmp_lt_i32_e64 s1, v20, v18
	s_and_not1_b32 s2, s2, exec_lo
	s_and_b32 s1, vcc_lo, s1
	s_delay_alu instid0(SALU_CYCLE_1) | instskip(NEXT) | instid1(SALU_CYCLE_1)
	s_and_b32 s1, s1, exec_lo
	s_or_b32 s2, s2, s1
.LBB9_27:                               ;   in Loop: Header=BB9_13 Depth=1
	s_or_b32 exec_lo, exec_lo, s3
	s_and_saveexec_b32 s1, s2
	s_cbranch_execz .LBB9_29
; %bb.28:                               ;   in Loop: Header=BB9_13 Depth=1
	s_wait_dscnt 0x1
	v_dual_mov_b32 v19, v22 :: v_dual_mov_b32 v91, v21
	s_wait_dscnt 0x0
	v_mov_b32_e32 v18, v20
.LBB9_29:                               ;   in Loop: Header=BB9_13 Depth=1
	s_or_b32 exec_lo, exec_lo, s1
	ds_bpermute_b32 v22, v90, v19
	s_wait_dscnt 0x2
	ds_bpermute_b32 v21, v90, v91
	s_wait_dscnt 0x2
	ds_bpermute_b32 v20, v90, v18
	s_mov_b32 s3, exec_lo
	s_wait_dscnt 0x2
	v_cmp_lt_f32_e64 s2, v19, v22
	v_cmpx_nlt_f32_e32 v19, v22
	s_cbranch_execz .LBB9_31
; %bb.30:                               ;   in Loop: Header=BB9_13 Depth=1
	v_cmp_eq_f32_e32 vcc_lo, v19, v22
	s_wait_dscnt 0x0
	v_cmp_lt_i32_e64 s1, v20, v18
	s_and_not1_b32 s2, s2, exec_lo
	s_and_b32 s1, vcc_lo, s1
	s_delay_alu instid0(SALU_CYCLE_1) | instskip(NEXT) | instid1(SALU_CYCLE_1)
	s_and_b32 s1, s1, exec_lo
	s_or_b32 s2, s2, s1
.LBB9_31:                               ;   in Loop: Header=BB9_13 Depth=1
	s_or_b32 exec_lo, exec_lo, s3
	s_and_saveexec_b32 s1, s2
	s_cbranch_execz .LBB9_33
; %bb.32:                               ;   in Loop: Header=BB9_13 Depth=1
	s_wait_dscnt 0x0
	v_dual_mov_b32 v91, v21 :: v_dual_mov_b32 v18, v20
.LBB9_33:                               ;   in Loop: Header=BB9_13 Depth=1
	s_or_b32 exec_lo, exec_lo, s1
	s_delay_alu instid0(VALU_DEP_1) | instskip(NEXT) | instid1(VALU_DEP_1)
	v_and_b32_e32 v19, 31, v18
	v_cmp_eq_u32_e32 vcc_lo, v19, v71
	s_and_saveexec_b32 s2, vcc_lo
	s_cbranch_execz .LBB9_35
; %bb.34:                               ;   in Loop: Header=BB9_13 Depth=1
	v_ashrrev_i32_e32 v19, 31, v18
	s_delay_alu instid0(VALU_DEP_1) | instskip(NEXT) | instid1(VALU_DEP_1)
	v_lshrrev_b32_e32 v19, 27, v19
	v_add_nc_u32_e32 v19, v18, v19
	s_delay_alu instid0(VALU_DEP_1) | instskip(NEXT) | instid1(VALU_DEP_1)
	v_ashrrev_i32_e32 v19, 5, v19
	v_cmp_ne_u32_e64 s1, 15, v19
	s_delay_alu instid0(VALU_DEP_1) | instskip(SKIP_1) | instid1(VALU_DEP_1)
	v_cndmask_b32_e64 v55, 0xff800000, v55, s1
	v_cmp_ne_u32_e64 s1, 14, v19
	v_cndmask_b32_e64 v54, 0xff800000, v54, s1
	v_cmp_ne_u32_e64 s1, 13, v19
	s_delay_alu instid0(VALU_DEP_1) | instskip(SKIP_1) | instid1(VALU_DEP_1)
	v_cndmask_b32_e64 v57, 0xff800000, v57, s1
	v_cmp_ne_u32_e64 s1, 12, v19
	v_cndmask_b32_e64 v56, 0xff800000, v56, s1
	;; [unrolled: 5-line block ×8, first 2 shown]
.LBB9_35:                               ;   in Loop: Header=BB9_13 Depth=1
	s_or_b32 exec_lo, exec_lo, s2
	s_and_saveexec_b32 s1, vcc_lo
	s_cbranch_execz .LBB9_12
; %bb.36:                               ;   in Loop: Header=BB9_13 Depth=1
	v_add_f32_e32 v19, v16, v91
	global_store_b32 v[52:53], v18, off
	v_cndmask_b32_e64 v16, v16, v19, s10
	s_branch .LBB9_12
.LBB9_37:
	v_mov_b32_e32 v16, 0
	s_wait_loadcnt 0x4
	s_delay_alu instid0(VALU_DEP_1)
	v_dual_mov_b32 v17, v16 :: v_dual_mov_b32 v18, v16
	s_wait_loadcnt 0x0
	v_dual_mov_b32 v19, v16 :: v_dual_mov_b32 v20, v16
	v_dual_mov_b32 v21, v16 :: v_dual_mov_b32 v22, v16
	;; [unrolled: 1-line block ×6, first 2 shown]
	v_mov_b32_e32 v31, v16
	v_mov_b64_e32 v[0:1], v[16:17]
	v_mov_b64_e32 v[2:3], v[18:19]
	;; [unrolled: 1-line block ×8, first 2 shown]
.LBB9_38:
	s_and_b32 vcc_lo, exec_lo, s10
	s_cbranch_vccz .LBB9_40
; %bb.39:
	v_xor_b32_e32 v18, 8, v35
	v_xor_b32_e32 v17, 16, v35
	s_delay_alu instid0(VALU_DEP_1) | instskip(SKIP_1) | instid1(VALU_DEP_4)
	v_cmp_gt_i32_e32 vcc_lo, 32, v17
	v_cndmask_b32_e32 v17, v35, v17, vcc_lo
	v_cmp_gt_i32_e32 vcc_lo, 32, v18
	v_cndmask_b32_e32 v18, v35, v18, vcc_lo
	s_delay_alu instid0(VALU_DEP_1)
	v_dual_lshlrev_b32 v18, 2, v18 :: v_dual_lshlrev_b32 v17, 2, v17
	ds_bpermute_b32 v17, v17, v16
	s_wait_dscnt 0x0
	v_add_f32_e32 v16, v16, v17
	ds_bpermute_b32 v17, v18, v16
	v_xor_b32_e32 v18, 4, v35
	s_delay_alu instid0(VALU_DEP_1) | instskip(SKIP_2) | instid1(VALU_DEP_1)
	v_cmp_gt_i32_e32 vcc_lo, 32, v18
	s_wait_dscnt 0x0
	v_dual_cndmask_b32 v18, v35, v18, vcc_lo :: v_dual_add_f32 v16, v16, v17
	v_lshlrev_b32_e32 v18, 2, v18
	ds_bpermute_b32 v17, v18, v16
	s_wait_dscnt 0x0
	v_dual_add_f32 v16, v16, v17 :: v_dual_bitop2_b32 v18, 2, v35 bitop3:0x14
	s_delay_alu instid0(VALU_DEP_1) | instskip(SKIP_1) | instid1(VALU_DEP_1)
	v_cmp_gt_i32_e32 vcc_lo, 32, v18
	v_cndmask_b32_e32 v18, v35, v18, vcc_lo
	v_lshlrev_b32_e32 v18, 2, v18
	ds_bpermute_b32 v17, v18, v16
	v_xor_b32_e32 v18, 1, v35
	s_delay_alu instid0(VALU_DEP_1) | instskip(SKIP_2) | instid1(VALU_DEP_1)
	v_cmp_gt_i32_e32 vcc_lo, 32, v18
	v_cndmask_b32_e32 v18, v35, v18, vcc_lo
	s_wait_dscnt 0x0
	v_dual_lshlrev_b32 v18, 2, v18 :: v_dual_add_f32 v16, v16, v17
	ds_bpermute_b32 v17, v18, v16
	v_max_num_f32_e64 v18, s26, s26
	s_wait_dscnt 0x0
	v_add_f32_e32 v16, v16, v17
	s_delay_alu instid0(VALU_DEP_1) | instskip(NEXT) | instid1(VALU_DEP_1)
	v_max_num_f32_e32 v16, v16, v18
	v_div_scale_f32 v17, null, v16, v16, 1.0
	s_delay_alu instid0(VALU_DEP_1) | instskip(SKIP_1) | instid1(TRANS32_DEP_1)
	v_rcp_f32_e32 v18, v17
	v_nop
	v_fma_f32 v19, -v17, v18, 1.0
	s_delay_alu instid0(VALU_DEP_1) | instskip(SKIP_1) | instid1(VALU_DEP_1)
	v_fmac_f32_e32 v18, v19, v18
	v_div_scale_f32 v20, vcc_lo, 1.0, v16, 1.0
	v_mul_f32_e32 v19, v20, v18
	s_delay_alu instid0(VALU_DEP_1) | instskip(NEXT) | instid1(VALU_DEP_1)
	v_fma_f32 v21, -v17, v19, v20
	v_fmac_f32_e32 v19, v21, v18
	s_delay_alu instid0(VALU_DEP_1) | instskip(NEXT) | instid1(VALU_DEP_1)
	v_fma_f32 v17, -v17, v19, v20
	v_div_fmas_f32 v17, v17, v18, v19
	s_delay_alu instid0(VALU_DEP_1) | instskip(NEXT) | instid1(VALU_DEP_1)
	v_div_fixup_f32 v16, v17, v16, 1.0
	v_pk_mul_f32 v[14:15], v[16:17], v[14:15] op_sel_hi:[0,1]
	v_pk_mul_f32 v[12:13], v[16:17], v[12:13] op_sel_hi:[0,1]
	;; [unrolled: 1-line block ×8, first 2 shown]
.LBB9_40:
	v_cmp_gt_i32_e64 s1, s25, v86
	v_cmp_gt_i32_e64 s2, s25, v85
	;; [unrolled: 1-line block ×16, first 2 shown]
	s_and_not1_b32 vcc_lo, exec_lo, s0
	s_cbranch_vccnz .LBB9_42
; %bb.41:
	v_dual_max_num_f32 v16, v0, v0 :: v_dual_max_num_f32 v17, v1, v1
	v_dual_max_num_f32 v18, v2, v2 :: v_dual_bitop2_b32 v20, 4, v35 bitop3:0x14
	v_xor_b32_e32 v22, 1, v35
	s_delay_alu instid0(VALU_DEP_3) | instskip(NEXT) | instid1(VALU_DEP_1)
	v_max_num_f32_e32 v16, 0xff800000, v16
	v_cndmask_b32_e64 v16, 0xff800000, v16, s16
	s_delay_alu instid0(VALU_DEP_1) | instskip(NEXT) | instid1(VALU_DEP_1)
	v_max_num_f32_e32 v17, v16, v17
	v_cndmask_b32_e64 v16, v16, v17, s1
	s_delay_alu instid0(VALU_DEP_1) | instskip(NEXT) | instid1(VALU_DEP_1)
	v_dual_max_num_f32 v17, v16, v18 :: v_dual_max_num_f32 v18, v3, v3
	v_cndmask_b32_e64 v16, v16, v17, s2
	s_delay_alu instid0(VALU_DEP_1) | instskip(SKIP_1) | instid1(VALU_DEP_2)
	v_max_num_f32_e32 v17, v16, v18
	v_max_num_f32_e32 v18, v4, v4
	v_cndmask_b32_e64 v16, v16, v17, s3
	s_delay_alu instid0(VALU_DEP_1) | instskip(NEXT) | instid1(VALU_DEP_1)
	v_max_num_f32_e32 v17, v16, v18
	v_cndmask_b32_e64 v16, v16, v17, s4
	s_delay_alu instid0(VALU_DEP_1) | instskip(NEXT) | instid1(VALU_DEP_1)
	v_dual_max_num_f32 v17, v5, v5 :: v_dual_max_num_f32 v18, v16, v16
	v_max_num_f32_e32 v17, v18, v17
	s_delay_alu instid0(VALU_DEP_1) | instskip(NEXT) | instid1(VALU_DEP_1)
	v_dual_cndmask_b32 v16, v16, v17, s5 :: v_dual_max_num_f32 v17, v6, v6
	v_max_num_f32_e32 v18, v16, v16
	s_delay_alu instid0(VALU_DEP_1) | instskip(NEXT) | instid1(VALU_DEP_1)
	v_max_num_f32_e32 v17, v18, v17
	v_dual_cndmask_b32 v16, v16, v17, s6 :: v_dual_max_num_f32 v17, v7, v7
	s_delay_alu instid0(VALU_DEP_1) | instskip(NEXT) | instid1(VALU_DEP_1)
	v_max_num_f32_e32 v18, v16, v16
	v_max_num_f32_e32 v17, v18, v17
	s_delay_alu instid0(VALU_DEP_1) | instskip(SKIP_1) | instid1(VALU_DEP_2)
	v_cndmask_b32_e64 v16, v16, v17, s7
	v_max_num_f32_e32 v17, v8, v8
	v_max_num_f32_e32 v18, v16, v16
	s_delay_alu instid0(VALU_DEP_1) | instskip(NEXT) | instid1(VALU_DEP_1)
	v_max_num_f32_e32 v17, v18, v17
	v_cndmask_b32_e64 v16, v16, v17, s8
	s_delay_alu instid0(VALU_DEP_1) | instskip(NEXT) | instid1(VALU_DEP_1)
	v_dual_max_num_f32 v17, v9, v9 :: v_dual_max_num_f32 v18, v16, v16
	v_max_num_f32_e32 v17, v18, v17
	s_delay_alu instid0(VALU_DEP_1) | instskip(NEXT) | instid1(VALU_DEP_1)
	v_dual_cndmask_b32 v16, v16, v17, s9 :: v_dual_max_num_f32 v17, v10, v10
	v_max_num_f32_e32 v18, v16, v16
	s_delay_alu instid0(VALU_DEP_1) | instskip(NEXT) | instid1(VALU_DEP_1)
	v_max_num_f32_e32 v17, v18, v17
	v_dual_cndmask_b32 v16, v16, v17, s10 :: v_dual_max_num_f32 v17, v11, v11
	s_delay_alu instid0(VALU_DEP_1) | instskip(NEXT) | instid1(VALU_DEP_1)
	v_max_num_f32_e32 v18, v16, v16
	v_max_num_f32_e32 v17, v18, v17
	s_delay_alu instid0(VALU_DEP_1) | instskip(SKIP_1) | instid1(VALU_DEP_2)
	v_cndmask_b32_e64 v16, v16, v17, s11
	v_max_num_f32_e32 v17, v12, v12
	v_max_num_f32_e32 v18, v16, v16
	s_delay_alu instid0(VALU_DEP_1) | instskip(NEXT) | instid1(VALU_DEP_1)
	v_max_num_f32_e32 v17, v18, v17
	v_cndmask_b32_e64 v16, v16, v17, s12
	s_delay_alu instid0(VALU_DEP_1) | instskip(NEXT) | instid1(VALU_DEP_1)
	v_dual_max_num_f32 v17, v13, v13 :: v_dual_max_num_f32 v18, v16, v16
	v_max_num_f32_e32 v17, v18, v17
	s_delay_alu instid0(VALU_DEP_1) | instskip(NEXT) | instid1(VALU_DEP_1)
	v_dual_cndmask_b32 v16, v16, v17, s13 :: v_dual_max_num_f32 v17, v14, v14
	v_max_num_f32_e32 v18, v16, v16
	s_delay_alu instid0(VALU_DEP_1) | instskip(NEXT) | instid1(VALU_DEP_1)
	v_dual_max_num_f32 v17, v18, v17 :: v_dual_max_num_f32 v18, v15, v15
	v_dual_cndmask_b32 v16, v16, v17, s14 :: v_dual_bitop2_b32 v17, 16, v35 bitop3:0x14
	s_delay_alu instid0(VALU_DEP_1) | instskip(NEXT) | instid1(VALU_DEP_2)
	v_max_num_f32_e32 v19, v16, v16
	v_cmp_gt_i32_e32 vcc_lo, 32, v17
	s_delay_alu instid0(VALU_DEP_2) | instskip(SKIP_1) | instid1(VALU_DEP_1)
	v_max_num_f32_e32 v18, v19, v18
	v_dual_cndmask_b32 v17, v35, v17, vcc_lo :: v_dual_bitop2_b32 v19, 8, v35 bitop3:0x14
	v_dual_cndmask_b32 v16, v16, v18, s15 :: v_dual_lshlrev_b32 v17, 2, v17
	s_delay_alu instid0(VALU_DEP_2) | instskip(SKIP_4) | instid1(VALU_DEP_2)
	v_cmp_gt_i32_e32 vcc_lo, 32, v19
	ds_bpermute_b32 v18, v17, v16
	v_dual_cndmask_b32 v19, v35, v19 :: v_dual_max_num_f32 v16, v16, v16
	v_cmp_gt_i32_e32 vcc_lo, 32, v20
	s_wait_dscnt 0x0
	v_dual_max_num_f32 v18, v18, v18 :: v_dual_lshlrev_b32 v19, 2, v19
	s_delay_alu instid0(VALU_DEP_1) | instskip(SKIP_3) | instid1(VALU_DEP_1)
	v_max_num_f32_e32 v16, v16, v18
	ds_bpermute_b32 v18, v19, v16
	s_wait_dscnt 0x0
	v_dual_cndmask_b32 v20, v35, v20, vcc_lo :: v_dual_max_num_f32 v18, v18, v18
	v_dual_lshlrev_b32 v20, 2, v20 :: v_dual_max_num_f32 v16, v16, v18
	ds_bpermute_b32 v18, v20, v16
	s_wait_dscnt 0x0
	v_dual_max_num_f32 v18, v18, v18 :: v_dual_bitop2_b32 v21, 2, v35 bitop3:0x14
	s_delay_alu instid0(VALU_DEP_1) | instskip(NEXT) | instid1(VALU_DEP_2)
	v_cmp_gt_i32_e32 vcc_lo, 32, v21
	v_dual_max_num_f32 v16, v16, v18 :: v_dual_cndmask_b32 v21, v35, v21
	v_cmp_gt_i32_e32 vcc_lo, 32, v22
	s_delay_alu instid0(VALU_DEP_2) | instskip(SKIP_4) | instid1(VALU_DEP_1)
	v_dual_cndmask_b32 v22, v35, v22 :: v_dual_lshlrev_b32 v21, 2, v21
	ds_bpermute_b32 v18, v21, v16
	v_lshlrev_b32_e32 v22, 2, v22
	s_wait_dscnt 0x0
	v_max_num_f32_e32 v18, v18, v18
	v_max_num_f32_e32 v16, v16, v18
	ds_bpermute_b32 v18, v22, v16
	s_wait_dscnt 0x0
	v_max_num_f32_e32 v18, v18, v18
	s_delay_alu instid0(VALU_DEP_1) | instskip(NEXT) | instid1(VALU_DEP_1)
	v_max_num_f32_e32 v16, v16, v18
	v_sub_f32_e32 v4, v4, v16
	s_delay_alu instid0(VALU_DEP_1)
	v_mul_f32_e32 v25, 0x3fb8aa3b, v4
	v_dual_sub_f32 v0, v0, v16 :: v_dual_sub_f32 v1, v1, v16
	v_dual_sub_f32 v2, v2, v16 :: v_dual_sub_f32 v3, v3, v16
	;; [unrolled: 1-line block ×7, first 2 shown]
	v_dual_sub_f32 v15, v15, v16 :: v_dual_mul_f32 v18, 0x3fb8aa3b, v1
	v_dual_mul_f32 v16, 0x3fb8aa3b, v0 :: v_dual_mul_f32 v23, 0x3fb8aa3b, v2
	v_dual_mul_f32 v26, 0x3fb8aa3b, v5 :: v_dual_mul_f32 v29, 0x3fb8aa3b, v8
	;; [unrolled: 1-line block ×3, first 2 shown]
	s_delay_alu instid0(VALU_DEP_3)
	v_fma_f32 v38, 0x3fb8aa3b, v0, -v16
	v_rndne_f32_e32 v39, v16
	v_fma_f32 v40, 0x3fb8aa3b, v1, -v18
	v_rndne_f32_e32 v41, v18
	v_rndne_f32_e32 v43, v23
	;; [unrolled: 1-line block ×3, first 2 shown]
	v_fmac_f32_e32 v38, 0x32a5705f, v0
	s_delay_alu instid0(VALU_DEP_4)
	v_dual_sub_f32 v16, v16, v39 :: v_dual_sub_f32 v18, v18, v41
	v_fma_f32 v42, 0x3fb8aa3b, v2, -v23
	v_rndne_f32_e32 v47, v25
	v_fma_f32 v48, 0x3fb8aa3b, v5, -v26
	v_rndne_f32_e32 v53, v28
	v_dual_fmac_f32 v40, 0x32a5705f, v1 :: v_dual_sub_f32 v23, v23, v43
	v_dual_sub_f32 v26, v26, v49 :: v_dual_add_f32 v16, v16, v38
	v_fma_f32 v46, 0x3fb8aa3b, v4, -v25
	v_fma_f32 v52, 0x3fb8aa3b, v7, -v28
	v_dual_sub_f32 v25, v25, v47 :: v_dual_sub_f32 v28, v28, v53
	v_add_f32_e32 v18, v18, v40
	v_exp_f32_e32 v16, v16
	v_dual_mul_f32 v30, 0x3fb8aa3b, v9 :: v_dual_mul_f32 v33, 0x3fb8aa3b, v12
	v_cvt_i32_f32_e32 v39, v39
	v_dual_mul_f32 v24, 0x3fb8aa3b, v3 :: v_dual_mul_f32 v27, 0x3fb8aa3b, v6
	v_exp_f32_e32 v18, v18
	v_dual_mul_f32 v32, 0x3fb8aa3b, v11 :: v_dual_mul_f32 v35, 0x3fb8aa3b, v13
	v_rndne_f32_e32 v57, v30
	v_cvt_i32_f32_e32 v41, v41
	v_ldexp_f32 v16, v16, v39
	v_cmp_ngt_f32_e32 vcc_lo, 0xc2ce8ed0, v0
	v_fma_f32 v44, 0x3fb8aa3b, v3, -v24
	v_rndne_f32_e32 v51, v27
	v_fmac_f32_e32 v42, 0x32a5705f, v2
	v_fma_f32 v56, 0x3fb8aa3b, v9, -v30
	v_rndne_f32_e32 v61, v32
	v_dual_sub_f32 v30, v30, v57 :: v_dual_cndmask_b32 v16, 0, v16, vcc_lo
	v_ldexp_f32 v18, v18, v41
	v_cmp_ngt_f32_e32 vcc_lo, 0xc2ce8ed0, v1
	v_rndne_f32_e32 v45, v24
	v_fma_f32 v50, 0x3fb8aa3b, v6, -v27
	v_sub_f32_e32 v27, v27, v51
	v_dual_fmac_f32 v44, 0x32a5705f, v3 :: v_dual_add_f32 v23, v23, v42
	v_fma_f32 v60, 0x3fb8aa3b, v11, -v32
	v_dual_sub_f32 v32, v32, v61 :: v_dual_cndmask_b32 v18, 0, v18, vcc_lo
	v_cmp_nlt_f32_e32 vcc_lo, 0x42b17218, v0
	v_rndne_f32_e32 v55, v29
	v_sub_f32_e32 v24, v24, v45
	v_exp_f32_e32 v23, v23
	v_rndne_f32_e32 v59, v31
	v_cvt_i32_f32_e32 v43, v43
	v_cndmask_b32_e32 v0, 0x7f800000, v16, vcc_lo
	v_cmp_nlt_f32_e32 vcc_lo, 0x42b17218, v1
	v_fma_f32 v54, 0x3fb8aa3b, v8, -v29
	v_dual_sub_f32 v29, v29, v55 :: v_dual_add_f32 v24, v24, v44
	v_fma_f32 v58, 0x3fb8aa3b, v10, -v31
	v_dual_fmac_f32 v46, 0x32a5705f, v4 :: v_dual_sub_f32 v31, v31, v59
	v_ldexp_f32 v23, v23, v43
	v_cndmask_b32_e32 v1, 0x7f800000, v18, vcc_lo
	s_delay_alu instid0(VALU_DEP_3)
	v_dual_cndmask_b32 v0, 0, v0, s16 :: v_dual_add_f32 v18, v25, v46
	v_cmp_ngt_f32_e32 vcc_lo, 0xc2ce8ed0, v2
	v_exp_f32_e32 v16, v24
	v_cvt_i32_f32_e32 v45, v45
	v_fmac_f32_e32 v48, 0x32a5705f, v5
	v_dual_fmac_f32 v50, 0x32a5705f, v6 :: v_dual_add_f32 v25, v1, v0
	v_cndmask_b32_e32 v23, 0, v23, vcc_lo
	v_cmp_nlt_f32_e32 vcc_lo, 0x42b17218, v2
	s_delay_alu instid0(TRANS32_DEP_1)
	v_ldexp_f32 v16, v16, v45
	v_exp_f32_e32 v18, v18
	v_cvt_i32_f32_e32 v47, v47
	v_fmac_f32_e32 v52, 0x32a5705f, v7
	v_cndmask_b32_e32 v2, 0x7f800000, v23, vcc_lo
	v_cmp_ngt_f32_e32 vcc_lo, 0xc2ce8ed0, v3
	v_dual_cndmask_b32 v23, v0, v25, s1 :: v_dual_add_f32 v25, v26, v48
	v_rndne_f32_e32 v63, v33
	v_ldexp_f32 v18, v18, v47
	v_cndmask_b32_e32 v16, 0, v16, vcc_lo
	v_cmp_nlt_f32_e32 vcc_lo, 0x42b17218, v3
	v_add_f32_e32 v26, v23, v2
	v_exp_f32_e32 v25, v25
	v_cvt_i32_f32_e32 v49, v49
	v_fmac_f32_e32 v54, 0x32a5705f, v8
	v_cndmask_b32_e32 v3, 0x7f800000, v16, vcc_lo
	v_dual_cndmask_b32 v16, v23, v26, s2 :: v_dual_sub_f32 v26, v33, v63
	v_cmp_ngt_f32_e32 vcc_lo, 0xc2ce8ed0, v4
	v_dual_fmac_f32 v56, 0x32a5705f, v9 :: v_dual_add_f32 v23, v27, v50
	s_delay_alu instid0(VALU_DEP_3)
	v_add_f32_e32 v27, v16, v3
	v_fmac_f32_e32 v60, 0x32a5705f, v11
	v_cndmask_b32_e32 v18, 0, v18, vcc_lo
	v_cmp_nlt_f32_e32 vcc_lo, 0x42b17218, v4
	v_ldexp_f32 v25, v25, v49
	v_cndmask_b32_e64 v16, v16, v27, s3
	v_exp_f32_e32 v23, v23
	v_cvt_i32_f32_e32 v51, v51
	v_cndmask_b32_e32 v4, 0x7f800000, v18, vcc_lo
	v_cmp_ngt_f32_e32 vcc_lo, 0xc2ce8ed0, v5
	v_fmac_f32_e32 v58, 0x32a5705f, v10
	v_fma_f32 v62, 0x3fb8aa3b, v12, -v33
	v_cvt_i32_f32_e32 v53, v53
	v_ldexp_f32 v23, v23, v51
	v_cndmask_b32_e32 v25, 0, v25, vcc_lo
	v_cmp_nlt_f32_e32 vcc_lo, 0x42b17218, v5
	v_add_f32_e32 v18, v28, v52
	v_cvt_i32_f32_e32 v55, v55
	v_rndne_f32_e32 v65, v35
	v_cvt_i32_f32_e32 v38, v57
	v_cndmask_b32_e32 v5, 0x7f800000, v25, vcc_lo
	v_cmp_ngt_f32_e32 vcc_lo, 0xc2ce8ed0, v6
	v_exp_f32_e32 v18, v18
	v_dual_add_f32 v25, v29, v54 :: v_dual_fmac_f32 v62, 0x32a5705f, v12
	v_fma_f32 v64, 0x3fb8aa3b, v13, -v35
	v_cndmask_b32_e32 v23, 0, v23, vcc_lo
	v_cmp_nlt_f32_e32 vcc_lo, 0x42b17218, v6
	s_delay_alu instid0(VALU_DEP_4) | instskip(NEXT) | instid1(TRANS32_DEP_2)
	v_exp_f32_e32 v25, v25
	v_ldexp_f32 v18, v18, v53
	v_cvt_i32_f32_e32 v40, v59
	v_cvt_i32_f32_e32 v24, v61
	v_cndmask_b32_e32 v6, 0x7f800000, v23, vcc_lo
	v_cmp_ngt_f32_e32 vcc_lo, 0xc2ce8ed0, v7
	v_add_f32_e32 v23, v30, v56
	v_ldexp_f32 v25, v25, v55
	v_dual_mul_f32 v36, 0x3fb8aa3b, v14 :: v_dual_mul_f32 v37, 0x3fb8aa3b, v15
	v_cndmask_b32_e32 v18, 0, v18, vcc_lo
	v_cmp_nlt_f32_e32 vcc_lo, 0x42b17218, v7
	v_exp_f32_e32 v23, v23
	s_delay_alu instid0(VALU_DEP_3)
	v_rndne_f32_e32 v67, v36
	v_cvt_i32_f32_e32 v27, v63
	v_fma_f32 v66, 0x3fb8aa3b, v14, -v36
	v_cndmask_b32_e32 v7, 0x7f800000, v18, vcc_lo
	v_cmp_ngt_f32_e32 vcc_lo, 0xc2ce8ed0, v8
	v_add_f32_e32 v18, v31, v58
	v_ldexp_f32 v23, v23, v38
	v_rndne_f32_e32 v69, v37
	v_fma_f32 v68, 0x3fb8aa3b, v15, -v37
	v_cndmask_b32_e32 v25, 0, v25, vcc_lo
	v_cmp_nlt_f32_e32 vcc_lo, 0x42b17218, v8
	v_exp_f32_e32 v18, v18
	v_cndmask_b32_e64 v1, 0, v1, s1
	v_fmac_f32_e32 v68, 0x32a5705f, v15
	v_cndmask_b32_e64 v3, 0, v3, s3
	v_dual_cndmask_b32 v8, 0x7f800000, v25 :: v_dual_add_f32 v25, v32, v60
	v_add_f32_e32 v28, v16, v4
	v_cmp_ngt_f32_e32 vcc_lo, 0xc2ce8ed0, v9
	v_fmac_f32_e32 v64, 0x32a5705f, v13
	v_ldexp_f32 v18, v18, v40
	v_exp_f32_e32 v25, v25
	v_dual_cndmask_b32 v16, v16, v28, s4 :: v_dual_cndmask_b32 v23, 0, v23, vcc_lo
	v_cmp_nlt_f32_e32 vcc_lo, 0x42b17218, v9
	v_dual_cndmask_b32 v2, 0, v2, s2 :: v_dual_cndmask_b32 v4, 0, v4, s4
	s_delay_alu instid0(VALU_DEP_3) | instskip(NEXT) | instid1(TRANS32_DEP_1)
	v_add_f32_e32 v28, v16, v5
	v_ldexp_f32 v24, v25, v24
	v_cndmask_b32_e32 v9, 0x7f800000, v23, vcc_lo
	v_cmp_ngt_f32_e32 vcc_lo, 0xc2ce8ed0, v10
	s_delay_alu instid0(VALU_DEP_4) | instskip(SKIP_2) | instid1(VALU_DEP_3)
	v_dual_add_f32 v23, v26, v62 :: v_dual_cndmask_b32 v16, v16, v28, s5
	v_dual_sub_f32 v28, v35, v65 :: v_dual_cndmask_b32 v18, 0, v18, vcc_lo
	v_cmp_nlt_f32_e32 vcc_lo, 0x42b17218, v10
	v_add_f32_e32 v29, v16, v6
	s_delay_alu instid0(VALU_DEP_4) | instskip(SKIP_2) | instid1(VALU_DEP_3)
	v_exp_f32_e32 v23, v23
	v_cndmask_b32_e64 v6, 0, v6, s6
	v_cndmask_b32_e32 v10, 0x7f800000, v18, vcc_lo
	v_cndmask_b32_e64 v16, v16, v29, s6
	v_cmp_ngt_f32_e32 vcc_lo, 0xc2ce8ed0, v11
	v_add_f32_e32 v18, v28, v64
	s_delay_alu instid0(TRANS32_DEP_1)
	v_ldexp_f32 v23, v23, v27
	v_cvt_i32_f32_e32 v29, v65
	v_dual_add_f32 v30, v16, v7 :: v_dual_cndmask_b32 v24, 0, v24, vcc_lo
	v_cmp_nlt_f32_e32 vcc_lo, 0x42b17218, v11
	v_sub_f32_e32 v26, v36, v67
	v_exp_f32_e32 v18, v18
	s_delay_alu instid0(VALU_DEP_3) | instskip(SKIP_3) | instid1(VALU_DEP_4)
	v_cndmask_b32_e64 v16, v16, v30, s7
	v_cndmask_b32_e32 v11, 0x7f800000, v24, vcc_lo
	v_cmp_ngt_f32_e32 vcc_lo, 0xc2ce8ed0, v12
	v_fmac_f32_e32 v66, 0x32a5705f, v14
	v_add_f32_e32 v30, v16, v8
	s_delay_alu instid0(TRANS32_DEP_1)
	v_ldexp_f32 v18, v18, v29
	v_dual_cndmask_b32 v5, 0, v5, s5 :: v_dual_cndmask_b32 v7, 0, v7, s7
	v_cndmask_b32_e32 v23, 0, v23, vcc_lo
	v_cmp_nlt_f32_e32 vcc_lo, 0x42b17218, v12
	v_cndmask_b32_e64 v16, v16, v30, s8
	v_add_f32_e32 v24, v26, v66
	s_delay_alu instid0(VALU_DEP_4) | instskip(SKIP_1) | instid1(VALU_DEP_4)
	v_cndmask_b32_e32 v12, 0x7f800000, v23, vcc_lo
	v_cmp_ngt_f32_e32 vcc_lo, 0xc2ce8ed0, v13
	v_add_f32_e32 v30, v16, v9
	s_delay_alu instid0(VALU_DEP_4) | instskip(SKIP_2) | instid1(VALU_DEP_2)
	v_exp_f32_e32 v24, v24
	v_dual_cndmask_b32 v9, 0, v9, s9 :: v_dual_cndmask_b32 v18, 0, v18, vcc_lo
	v_cmp_nlt_f32_e32 vcc_lo, 0x42b17218, v13
	v_cndmask_b32_e32 v13, 0x7f800000, v18, vcc_lo
	v_cmp_ngt_f32_e32 vcc_lo, 0xc2ce8ed0, v14
	v_cndmask_b32_e64 v16, v16, v30, s9
	v_cvt_i32_f32_e32 v18, v69
	s_delay_alu instid0(VALU_DEP_2) | instskip(NEXT) | instid1(VALU_DEP_1)
	v_dual_add_f32 v25, v16, v10 :: v_dual_cndmask_b32 v8, 0, v8, s8
	v_cndmask_b32_e64 v16, v16, v25, s10
	v_sub_f32_e32 v25, v37, v69
	s_delay_alu instid0(VALU_DEP_1) | instskip(SKIP_1) | instid1(VALU_DEP_2)
	v_add_f32_e32 v23, v25, v68
	v_cvt_i32_f32_e32 v25, v67
	v_exp_f32_e32 v23, v23
	s_delay_alu instid0(VALU_DEP_1) | instskip(NEXT) | instid1(VALU_DEP_1)
	v_ldexp_f32 v24, v24, v25
	v_cndmask_b32_e32 v24, 0, v24, vcc_lo
	v_cmp_nlt_f32_e32 vcc_lo, 0x42b17218, v14
	s_delay_alu instid0(TRANS32_DEP_1) | instskip(NEXT) | instid1(VALU_DEP_3)
	v_ldexp_f32 v18, v23, v18
	v_cndmask_b32_e32 v14, 0x7f800000, v24, vcc_lo
	v_cmp_ngt_f32_e32 vcc_lo, 0xc2ce8ed0, v15
	s_delay_alu instid0(VALU_DEP_3) | instskip(SKIP_1) | instid1(VALU_DEP_2)
	v_dual_cndmask_b32 v18, 0, v18, vcc_lo :: v_dual_add_f32 v26, v16, v11
	v_cmp_nlt_f32_e32 vcc_lo, 0x42b17218, v15
	v_dual_cndmask_b32 v11, 0, v11, s11 :: v_dual_cndmask_b32 v16, v16, v26, s11
	s_delay_alu instid0(VALU_DEP_1) | instskip(NEXT) | instid1(VALU_DEP_1)
	v_dual_cndmask_b32 v15, 0x7f800000, v18 :: v_dual_add_f32 v26, v16, v12
	v_cndmask_b32_e64 v16, v16, v26, s12
	s_delay_alu instid0(VALU_DEP_1) | instskip(NEXT) | instid1(VALU_DEP_1)
	v_dual_add_f32 v25, v16, v13 :: v_dual_cndmask_b32 v10, 0, v10, s10
	v_cndmask_b32_e64 v16, v16, v25, s13
	s_delay_alu instid0(VALU_DEP_1) | instskip(NEXT) | instid1(VALU_DEP_1)
	v_add_f32_e32 v23, v16, v14
	v_cndmask_b32_e64 v16, v16, v23, s14
	s_delay_alu instid0(VALU_DEP_1) | instskip(NEXT) | instid1(VALU_DEP_1)
	v_dual_add_f32 v18, v16, v15 :: v_dual_cndmask_b32 v13, 0, v13, s13
	v_cndmask_b32_e64 v16, v16, v18, s15
	ds_bpermute_b32 v17, v17, v16
	s_wait_dscnt 0x0
	v_dual_add_f32 v16, v16, v17 :: v_dual_cndmask_b32 v15, 0, v15, s15
	ds_bpermute_b32 v17, v19, v16
	s_wait_dscnt 0x0
	v_add_f32_e32 v16, v16, v17
	ds_bpermute_b32 v17, v20, v16
	s_wait_dscnt 0x0
	v_add_f32_e32 v16, v16, v17
	;; [unrolled: 3-line block ×4, first 2 shown]
	s_delay_alu instid0(VALU_DEP_1) | instskip(SKIP_1) | instid1(VALU_DEP_2)
	v_div_scale_f32 v17, null, v16, v16, 1.0
	v_div_scale_f32 v20, vcc_lo, 1.0, v16, 1.0
	v_rcp_f32_e32 v18, v17
	v_nop
	s_delay_alu instid0(TRANS32_DEP_1) | instskip(NEXT) | instid1(VALU_DEP_1)
	v_fma_f32 v19, -v17, v18, 1.0
	v_fmac_f32_e32 v18, v19, v18
	s_delay_alu instid0(VALU_DEP_1) | instskip(NEXT) | instid1(VALU_DEP_1)
	v_dual_mul_f32 v19, v20, v18 :: v_dual_cndmask_b32 v12, 0, v12, s12
	v_fma_f32 v21, -v17, v19, v20
	s_delay_alu instid0(VALU_DEP_1) | instskip(NEXT) | instid1(VALU_DEP_1)
	v_fmac_f32_e32 v19, v21, v18
	v_dual_cndmask_b32 v14, 0, v14, s14 :: v_dual_fma_f32 v17, -v17, v19, v20
	s_delay_alu instid0(VALU_DEP_1) | instskip(NEXT) | instid1(VALU_DEP_1)
	v_div_fmas_f32 v17, v17, v18, v19
	v_div_fixup_f32 v16, v17, v16, 1.0
	s_delay_alu instid0(VALU_DEP_1)
	v_dual_mul_f32 v17, v0, v16 :: v_dual_mul_f32 v18, v1, v16
	v_dual_mul_f32 v19, v2, v16 :: v_dual_mul_f32 v20, v3, v16
	;; [unrolled: 1-line block ×8, first 2 shown]
	v_dual_cndmask_b32 v0, v0, v17, s16 :: v_dual_cndmask_b32 v1, v1, v18, s1
	v_dual_cndmask_b32 v2, v2, v19, s2 :: v_dual_cndmask_b32 v3, v3, v20, s3
	;; [unrolled: 1-line block ×8, first 2 shown]
.LBB9_42:
	v_mul_lo_u32 v16, v70, s25
	s_mov_b32 s0, exec_lo
	s_delay_alu instid0(VALU_DEP_1) | instskip(NEXT) | instid1(VALU_DEP_1)
	v_ashrrev_i32_e32 v17, 31, v16
	v_lshl_add_u64 v[16:17], v[16:17], 2, s[18:19]
	v_cmpx_gt_i32_e64 s25, v71
	s_cbranch_execnz .LBB9_60
; %bb.43:
	s_or_b32 exec_lo, exec_lo, s0
	s_delay_alu instid0(SALU_CYCLE_1)
	s_mov_b32 s0, exec_lo
	v_cmpx_gt_i32_e64 s25, v86
	s_cbranch_execnz .LBB9_61
.LBB9_44:
	s_or_b32 exec_lo, exec_lo, s0
	s_delay_alu instid0(SALU_CYCLE_1)
	s_mov_b32 s0, exec_lo
	v_cmpx_gt_i32_e64 s25, v85
	s_cbranch_execnz .LBB9_62
.LBB9_45:
	s_or_b32 exec_lo, exec_lo, s0
	s_delay_alu instid0(SALU_CYCLE_1)
	s_mov_b32 s0, exec_lo
	v_cmpx_gt_i32_e64 s25, v84
	s_cbranch_execnz .LBB9_63
.LBB9_46:
	s_or_b32 exec_lo, exec_lo, s0
	s_delay_alu instid0(SALU_CYCLE_1)
	s_mov_b32 s0, exec_lo
	v_cmpx_gt_i32_e64 s25, v83
	s_cbranch_execnz .LBB9_64
.LBB9_47:
	s_or_b32 exec_lo, exec_lo, s0
	s_delay_alu instid0(SALU_CYCLE_1)
	s_mov_b32 s0, exec_lo
	v_cmpx_gt_i32_e64 s25, v82
	s_cbranch_execnz .LBB9_65
.LBB9_48:
	s_or_b32 exec_lo, exec_lo, s0
	s_delay_alu instid0(SALU_CYCLE_1)
	s_mov_b32 s0, exec_lo
	v_cmpx_gt_i32_e64 s25, v81
	s_cbranch_execnz .LBB9_66
.LBB9_49:
	s_or_b32 exec_lo, exec_lo, s0
	s_delay_alu instid0(SALU_CYCLE_1)
	s_mov_b32 s0, exec_lo
	v_cmpx_gt_i32_e64 s25, v80
	s_cbranch_execnz .LBB9_67
.LBB9_50:
	s_or_b32 exec_lo, exec_lo, s0
	s_delay_alu instid0(SALU_CYCLE_1)
	s_mov_b32 s0, exec_lo
	v_cmpx_gt_i32_e64 s25, v79
	s_cbranch_execnz .LBB9_68
.LBB9_51:
	s_or_b32 exec_lo, exec_lo, s0
	s_delay_alu instid0(SALU_CYCLE_1)
	s_mov_b32 s0, exec_lo
	v_cmpx_gt_i32_e64 s25, v78
	s_cbranch_execnz .LBB9_69
.LBB9_52:
	s_or_b32 exec_lo, exec_lo, s0
	s_delay_alu instid0(SALU_CYCLE_1)
	s_mov_b32 s0, exec_lo
	v_cmpx_gt_i32_e64 s25, v77
	s_cbranch_execnz .LBB9_70
.LBB9_53:
	s_or_b32 exec_lo, exec_lo, s0
	s_delay_alu instid0(SALU_CYCLE_1)
	s_mov_b32 s0, exec_lo
	v_cmpx_gt_i32_e64 s25, v76
	s_cbranch_execnz .LBB9_71
.LBB9_54:
	s_or_b32 exec_lo, exec_lo, s0
	s_delay_alu instid0(SALU_CYCLE_1)
	s_mov_b32 s0, exec_lo
	v_cmpx_gt_i32_e64 s25, v75
	s_cbranch_execnz .LBB9_72
.LBB9_55:
	s_or_b32 exec_lo, exec_lo, s0
	s_delay_alu instid0(SALU_CYCLE_1)
	s_mov_b32 s0, exec_lo
	v_cmpx_gt_i32_e64 s25, v74
	s_cbranch_execnz .LBB9_73
.LBB9_56:
	s_or_b32 exec_lo, exec_lo, s0
	s_delay_alu instid0(SALU_CYCLE_1)
	s_mov_b32 s0, exec_lo
	v_cmpx_gt_i32_e64 s25, v73
	s_cbranch_execnz .LBB9_74
.LBB9_57:
	s_or_b32 exec_lo, exec_lo, s0
	v_cmp_gt_i32_e32 vcc_lo, s25, v72
	s_and_b32 exec_lo, exec_lo, vcc_lo
	s_cbranch_execz .LBB9_59
.LBB9_58:
	v_dual_mov_b32 v35, 0 :: v_dual_mul_f32 v2, s27, v15
	s_delay_alu instid0(VALU_DEP_1)
	v_add_nc_u64_e32 v[0:1], v[16:17], v[34:35]
	global_store_b32 v[0:1], v2, off offset:1920
.LBB9_59:
	s_sendmsg sendmsg(MSG_DEALLOC_VGPRS)
	s_endpgm
.LBB9_60:
	v_dual_mov_b32 v35, 0 :: v_dual_mul_f32 v0, s27, v0
	s_delay_alu instid0(VALU_DEP_1) | instskip(SKIP_3) | instid1(SALU_CYCLE_1)
	v_add_nc_u64_e32 v[18:19], v[16:17], v[34:35]
	global_store_b32 v[18:19], v0, off
	s_wait_xcnt 0x0
	s_or_b32 exec_lo, exec_lo, s0
	s_mov_b32 s0, exec_lo
	v_cmpx_gt_i32_e64 s25, v86
	s_cbranch_execz .LBB9_44
.LBB9_61:
	v_dual_mov_b32 v35, 0 :: v_dual_mul_f32 v0, s27, v1
	s_delay_alu instid0(VALU_DEP_1) | instskip(SKIP_3) | instid1(SALU_CYCLE_1)
	v_add_nc_u64_e32 v[18:19], v[16:17], v[34:35]
	global_store_b32 v[18:19], v0, off offset:128
	s_wait_xcnt 0x0
	s_or_b32 exec_lo, exec_lo, s0
	s_mov_b32 s0, exec_lo
	v_cmpx_gt_i32_e64 s25, v85
	s_cbranch_execz .LBB9_45
.LBB9_62:
	v_dual_mov_b32 v35, 0 :: v_dual_mul_f32 v2, s27, v2
	s_delay_alu instid0(VALU_DEP_1) | instskip(SKIP_3) | instid1(SALU_CYCLE_1)
	v_add_nc_u64_e32 v[0:1], v[16:17], v[34:35]
	global_store_b32 v[0:1], v2, off offset:256
	s_wait_xcnt 0x0
	s_or_b32 exec_lo, exec_lo, s0
	s_mov_b32 s0, exec_lo
	v_cmpx_gt_i32_e64 s25, v84
	s_cbranch_execz .LBB9_46
.LBB9_63:
	v_dual_mov_b32 v35, 0 :: v_dual_mul_f32 v2, s27, v3
	s_delay_alu instid0(VALU_DEP_1) | instskip(SKIP_3) | instid1(SALU_CYCLE_1)
	v_add_nc_u64_e32 v[0:1], v[16:17], v[34:35]
	global_store_b32 v[0:1], v2, off offset:384
	s_wait_xcnt 0x0
	s_or_b32 exec_lo, exec_lo, s0
	s_mov_b32 s0, exec_lo
	v_cmpx_gt_i32_e64 s25, v83
	s_cbranch_execz .LBB9_47
.LBB9_64:
	v_dual_mov_b32 v35, 0 :: v_dual_mul_f32 v2, s27, v4
	s_delay_alu instid0(VALU_DEP_1) | instskip(SKIP_3) | instid1(SALU_CYCLE_1)
	v_add_nc_u64_e32 v[0:1], v[16:17], v[34:35]
	global_store_b32 v[0:1], v2, off offset:512
	s_wait_xcnt 0x0
	s_or_b32 exec_lo, exec_lo, s0
	s_mov_b32 s0, exec_lo
	v_cmpx_gt_i32_e64 s25, v82
	s_cbranch_execz .LBB9_48
.LBB9_65:
	v_dual_mov_b32 v35, 0 :: v_dual_mul_f32 v2, s27, v5
	s_delay_alu instid0(VALU_DEP_1) | instskip(SKIP_3) | instid1(SALU_CYCLE_1)
	v_add_nc_u64_e32 v[0:1], v[16:17], v[34:35]
	global_store_b32 v[0:1], v2, off offset:640
	s_wait_xcnt 0x0
	s_or_b32 exec_lo, exec_lo, s0
	s_mov_b32 s0, exec_lo
	v_cmpx_gt_i32_e64 s25, v81
	s_cbranch_execz .LBB9_49
.LBB9_66:
	v_dual_mov_b32 v35, 0 :: v_dual_mul_f32 v2, s27, v6
	s_delay_alu instid0(VALU_DEP_1) | instskip(SKIP_3) | instid1(SALU_CYCLE_1)
	v_add_nc_u64_e32 v[0:1], v[16:17], v[34:35]
	global_store_b32 v[0:1], v2, off offset:768
	s_wait_xcnt 0x0
	s_or_b32 exec_lo, exec_lo, s0
	s_mov_b32 s0, exec_lo
	v_cmpx_gt_i32_e64 s25, v80
	s_cbranch_execz .LBB9_50
.LBB9_67:
	v_dual_mov_b32 v35, 0 :: v_dual_mul_f32 v2, s27, v7
	s_delay_alu instid0(VALU_DEP_1) | instskip(SKIP_3) | instid1(SALU_CYCLE_1)
	v_add_nc_u64_e32 v[0:1], v[16:17], v[34:35]
	global_store_b32 v[0:1], v2, off offset:896
	s_wait_xcnt 0x0
	s_or_b32 exec_lo, exec_lo, s0
	s_mov_b32 s0, exec_lo
	v_cmpx_gt_i32_e64 s25, v79
	s_cbranch_execz .LBB9_51
.LBB9_68:
	v_dual_mov_b32 v35, 0 :: v_dual_mul_f32 v2, s27, v8
	s_delay_alu instid0(VALU_DEP_1) | instskip(SKIP_3) | instid1(SALU_CYCLE_1)
	v_add_nc_u64_e32 v[0:1], v[16:17], v[34:35]
	global_store_b32 v[0:1], v2, off offset:1024
	s_wait_xcnt 0x0
	s_or_b32 exec_lo, exec_lo, s0
	s_mov_b32 s0, exec_lo
	v_cmpx_gt_i32_e64 s25, v78
	s_cbranch_execz .LBB9_52
.LBB9_69:
	v_dual_mov_b32 v35, 0 :: v_dual_mul_f32 v2, s27, v9
	s_delay_alu instid0(VALU_DEP_1) | instskip(SKIP_3) | instid1(SALU_CYCLE_1)
	v_add_nc_u64_e32 v[0:1], v[16:17], v[34:35]
	global_store_b32 v[0:1], v2, off offset:1152
	s_wait_xcnt 0x0
	s_or_b32 exec_lo, exec_lo, s0
	s_mov_b32 s0, exec_lo
	v_cmpx_gt_i32_e64 s25, v77
	s_cbranch_execz .LBB9_53
.LBB9_70:
	v_dual_mov_b32 v35, 0 :: v_dual_mul_f32 v2, s27, v10
	s_delay_alu instid0(VALU_DEP_1) | instskip(SKIP_3) | instid1(SALU_CYCLE_1)
	v_add_nc_u64_e32 v[0:1], v[16:17], v[34:35]
	global_store_b32 v[0:1], v2, off offset:1280
	s_wait_xcnt 0x0
	s_or_b32 exec_lo, exec_lo, s0
	s_mov_b32 s0, exec_lo
	v_cmpx_gt_i32_e64 s25, v76
	s_cbranch_execz .LBB9_54
.LBB9_71:
	v_dual_mov_b32 v35, 0 :: v_dual_mul_f32 v2, s27, v11
	s_delay_alu instid0(VALU_DEP_1) | instskip(SKIP_3) | instid1(SALU_CYCLE_1)
	v_add_nc_u64_e32 v[0:1], v[16:17], v[34:35]
	global_store_b32 v[0:1], v2, off offset:1408
	s_wait_xcnt 0x0
	s_or_b32 exec_lo, exec_lo, s0
	s_mov_b32 s0, exec_lo
	v_cmpx_gt_i32_e64 s25, v75
	s_cbranch_execz .LBB9_55
.LBB9_72:
	v_dual_mov_b32 v35, 0 :: v_dual_mul_f32 v2, s27, v12
	s_delay_alu instid0(VALU_DEP_1) | instskip(SKIP_3) | instid1(SALU_CYCLE_1)
	v_add_nc_u64_e32 v[0:1], v[16:17], v[34:35]
	global_store_b32 v[0:1], v2, off offset:1536
	s_wait_xcnt 0x0
	s_or_b32 exec_lo, exec_lo, s0
	s_mov_b32 s0, exec_lo
	v_cmpx_gt_i32_e64 s25, v74
	s_cbranch_execz .LBB9_56
.LBB9_73:
	v_dual_mov_b32 v35, 0 :: v_dual_mul_f32 v2, s27, v13
	s_delay_alu instid0(VALU_DEP_1) | instskip(SKIP_3) | instid1(SALU_CYCLE_1)
	v_add_nc_u64_e32 v[0:1], v[16:17], v[34:35]
	global_store_b32 v[0:1], v2, off offset:1664
	s_wait_xcnt 0x0
	s_or_b32 exec_lo, exec_lo, s0
	s_mov_b32 s0, exec_lo
	v_cmpx_gt_i32_e64 s25, v73
	s_cbranch_execz .LBB9_57
.LBB9_74:
	v_dual_mov_b32 v35, 0 :: v_dual_mul_f32 v2, s27, v14
	s_delay_alu instid0(VALU_DEP_1)
	v_add_nc_u64_e32 v[0:1], v[16:17], v[34:35]
	global_store_b32 v[0:1], v2, off offset:1792
	s_wait_xcnt 0x0
	s_or_b32 exec_lo, exec_lo, s0
	v_cmp_gt_i32_e32 vcc_lo, s25, v72
	s_and_b32 exec_lo, exec_lo, vcc_lo
	s_cbranch_execnz .LBB9_58
	s_branch .LBB9_59
	.section	.rodata,"a",@progbits
	.p2align	6, 0x0
	.amdhsa_kernel _Z13topk_moe_cudaILi512ELb1EEvPKfPfPiS2_iiff15topk_moe_config
		.amdhsa_group_segment_fixed_size 0
		.amdhsa_private_segment_fixed_size 0
		.amdhsa_kernarg_size 312
		.amdhsa_user_sgpr_count 2
		.amdhsa_user_sgpr_dispatch_ptr 0
		.amdhsa_user_sgpr_queue_ptr 0
		.amdhsa_user_sgpr_kernarg_segment_ptr 1
		.amdhsa_user_sgpr_dispatch_id 0
		.amdhsa_user_sgpr_kernarg_preload_length 0
		.amdhsa_user_sgpr_kernarg_preload_offset 0
		.amdhsa_user_sgpr_private_segment_size 0
		.amdhsa_wavefront_size32 1
		.amdhsa_uses_dynamic_stack 0
		.amdhsa_enable_private_segment 0
		.amdhsa_system_sgpr_workgroup_id_x 1
		.amdhsa_system_sgpr_workgroup_id_y 0
		.amdhsa_system_sgpr_workgroup_id_z 0
		.amdhsa_system_sgpr_workgroup_info 0
		.amdhsa_system_vgpr_workitem_id 1
		.amdhsa_next_free_vgpr 92
		.amdhsa_next_free_sgpr 28
		.amdhsa_named_barrier_count 0
		.amdhsa_reserve_vcc 1
		.amdhsa_float_round_mode_32 0
		.amdhsa_float_round_mode_16_64 0
		.amdhsa_float_denorm_mode_32 3
		.amdhsa_float_denorm_mode_16_64 3
		.amdhsa_fp16_overflow 0
		.amdhsa_memory_ordered 1
		.amdhsa_forward_progress 1
		.amdhsa_inst_pref_size 101
		.amdhsa_round_robin_scheduling 0
		.amdhsa_exception_fp_ieee_invalid_op 0
		.amdhsa_exception_fp_denorm_src 0
		.amdhsa_exception_fp_ieee_div_zero 0
		.amdhsa_exception_fp_ieee_overflow 0
		.amdhsa_exception_fp_ieee_underflow 0
		.amdhsa_exception_fp_ieee_inexact 0
		.amdhsa_exception_int_div_zero 0
	.end_amdhsa_kernel
	.section	.text._Z13topk_moe_cudaILi512ELb1EEvPKfPfPiS2_iiff15topk_moe_config,"axG",@progbits,_Z13topk_moe_cudaILi512ELb1EEvPKfPfPiS2_iiff15topk_moe_config,comdat
.Lfunc_end9:
	.size	_Z13topk_moe_cudaILi512ELb1EEvPKfPfPiS2_iiff15topk_moe_config, .Lfunc_end9-_Z13topk_moe_cudaILi512ELb1EEvPKfPfPiS2_iiff15topk_moe_config
                                        ; -- End function
	.set _Z13topk_moe_cudaILi512ELb1EEvPKfPfPiS2_iiff15topk_moe_config.num_vgpr, 92
	.set _Z13topk_moe_cudaILi512ELb1EEvPKfPfPiS2_iiff15topk_moe_config.num_agpr, 0
	.set _Z13topk_moe_cudaILi512ELb1EEvPKfPfPiS2_iiff15topk_moe_config.numbered_sgpr, 28
	.set _Z13topk_moe_cudaILi512ELb1EEvPKfPfPiS2_iiff15topk_moe_config.num_named_barrier, 0
	.set _Z13topk_moe_cudaILi512ELb1EEvPKfPfPiS2_iiff15topk_moe_config.private_seg_size, 0
	.set _Z13topk_moe_cudaILi512ELb1EEvPKfPfPiS2_iiff15topk_moe_config.uses_vcc, 1
	.set _Z13topk_moe_cudaILi512ELb1EEvPKfPfPiS2_iiff15topk_moe_config.uses_flat_scratch, 0
	.set _Z13topk_moe_cudaILi512ELb1EEvPKfPfPiS2_iiff15topk_moe_config.has_dyn_sized_stack, 0
	.set _Z13topk_moe_cudaILi512ELb1EEvPKfPfPiS2_iiff15topk_moe_config.has_recursion, 0
	.set _Z13topk_moe_cudaILi512ELb1EEvPKfPfPiS2_iiff15topk_moe_config.has_indirect_call, 0
	.section	.AMDGPU.csdata,"",@progbits
; Kernel info:
; codeLenInByte = 12828
; TotalNumSgprs: 30
; NumVgprs: 92
; ScratchSize: 0
; MemoryBound: 0
; FloatMode: 240
; IeeeMode: 1
; LDSByteSize: 0 bytes/workgroup (compile time only)
; SGPRBlocks: 0
; VGPRBlocks: 5
; NumSGPRsForWavesPerEU: 30
; NumVGPRsForWavesPerEU: 92
; NamedBarCnt: 0
; Occupancy: 10
; WaveLimiterHint : 1
; COMPUTE_PGM_RSRC2:SCRATCH_EN: 0
; COMPUTE_PGM_RSRC2:USER_SGPR: 2
; COMPUTE_PGM_RSRC2:TRAP_HANDLER: 0
; COMPUTE_PGM_RSRC2:TGID_X_EN: 1
; COMPUTE_PGM_RSRC2:TGID_Y_EN: 0
; COMPUTE_PGM_RSRC2:TGID_Z_EN: 0
; COMPUTE_PGM_RSRC2:TIDIG_COMP_CNT: 1
	.section	.text._Z13topk_moe_cudaILi576ELb1EEvPKfPfPiS2_iiff15topk_moe_config,"axG",@progbits,_Z13topk_moe_cudaILi576ELb1EEvPKfPfPiS2_iiff15topk_moe_config,comdat
	.protected	_Z13topk_moe_cudaILi576ELb1EEvPKfPfPiS2_iiff15topk_moe_config ; -- Begin function _Z13topk_moe_cudaILi576ELb1EEvPKfPfPiS2_iiff15topk_moe_config
	.globl	_Z13topk_moe_cudaILi576ELb1EEvPKfPfPiS2_iiff15topk_moe_config
	.p2align	8
	.type	_Z13topk_moe_cudaILi576ELb1EEvPKfPfPiS2_iiff15topk_moe_config,@function
_Z13topk_moe_cudaILi576ELb1EEvPKfPfPiS2_iiff15topk_moe_config: ; @_Z13topk_moe_cudaILi576ELb1EEvPKfPfPiS2_iiff15topk_moe_config
; %bb.0:
	s_clause 0x1
	s_load_u16 s2, s[0:1], 0x46
	s_load_b128 s[28:31], s[0:1], 0x20
	s_bfe_u32 s3, ttmp6, 0x4000c
	s_and_b32 s4, ttmp6, 15
	s_add_co_i32 s3, s3, 1
	v_bfe_u32 v1, v0, 10, 10
	s_mul_i32 s3, ttmp9, s3
	s_delay_alu instid0(SALU_CYCLE_1) | instskip(SKIP_1) | instid1(SALU_CYCLE_1)
	s_add_co_i32 s4, s4, s3
	s_getreg_b32 s3, hwreg(HW_REG_IB_STS2, 6, 4)
	s_cmp_eq_u32 s3, 0
	s_cselect_b32 s3, ttmp9, s4
	s_wait_kmcnt 0x0
	v_mad_u32 v92, s3, s2, v1
	s_mov_b32 s2, exec_lo
	s_delay_alu instid0(VALU_DEP_1)
	v_cmpx_gt_i32_e64 s28, v92
	s_cbranch_execz .LBB10_61
; %bb.1:
	s_load_b256 s[20:27], s[0:1], 0x0
	v_mul_lo_u32 v2, 0x240, v92
	v_and_b32_e32 v93, 0x3ff, v0
	s_delay_alu instid0(VALU_DEP_1) | instskip(NEXT) | instid1(VALU_DEP_3)
	v_dual_mov_b32 v67, 0 :: v_dual_lshlrev_b32 v66, 2, v93
	v_ashrrev_i32_e32 v3, 31, v2
	s_wait_kmcnt 0x0
	s_delay_alu instid0(VALU_DEP_1) | instskip(NEXT) | instid1(VALU_DEP_1)
	v_lshl_add_u64 v[0:1], v[2:3], 2, s[20:21]
	v_add_nc_u64_e32 v[4:5], v[0:1], v[66:67]
	s_clause 0x1
	global_load_u16 v0, v67, s[0:1] offset:48
	global_load_u8 v1, v67, s[0:1] offset:50
	s_clause 0x11
	global_load_b32 v37, v[4:5], off
	global_load_b32 v36, v[4:5], off offset:128
	global_load_b32 v20, v[4:5], off offset:256
	;; [unrolled: 1-line block ×12, first 2 shown]
	; meta instruction
	; meta instruction
	global_load_b32 v31, v[4:5], off offset:1664
	global_load_b32 v35, v[4:5], off offset:1792
	;; [unrolled: 1-line block ×5, first 2 shown]
	s_wait_loadcnt 0x13
	s_wait_xcnt 0x12
	v_readfirstlane_b32 s1, v0
	s_wait_loadcnt 0x12
	v_and_b32_e32 v1, 1, v1
	s_and_b32 s5, 0xffff, s1
	s_delay_alu instid0(VALU_DEP_1)
	v_cmp_eq_u32_e64 s0, 1, v1
	s_and_b32 vcc_lo, exec_lo, s0
	s_cbranch_vccnz .LBB10_7
; %bb.2:
	v_and_b32_e32 v0, 1, v0
	s_mov_b32 s1, 0
	s_delay_alu instid0(VALU_DEP_1)
	v_cmp_eq_u32_e32 vcc_lo, 0, v0
	s_cbranch_vccz .LBB10_4
; %bb.3:
	s_wait_loadcnt 0x10
	v_max3_num_f32 v0, v37, 0xff800000, v36
	v_mbcnt_lo_u32_b32 v1, -1, 0
	s_wait_loadcnt 0xe
	s_delay_alu instid0(VALU_DEP_2) | instskip(SKIP_1) | instid1(VALU_DEP_2)
	v_max3_num_f32 v0, v0, v20, v21
	s_wait_xcnt 0x0
	v_xor_b32_e32 v4, 16, v1
	v_xor_b32_e32 v5, 8, v1
	s_wait_loadcnt 0xc
	v_max3_num_f32 v0, v0, v22, v23
	s_delay_alu instid0(VALU_DEP_3) | instskip(SKIP_1) | instid1(VALU_DEP_2)
	v_cmp_gt_i32_e32 vcc_lo, 32, v4
	s_wait_loadcnt 0xa
	v_max3_num_f32 v0, v0, v24, v25
	v_cndmask_b32_e32 v4, v1, v4, vcc_lo
	v_cmp_gt_i32_e32 vcc_lo, 32, v5
	s_wait_loadcnt 0x8
	s_delay_alu instid0(VALU_DEP_3) | instskip(NEXT) | instid1(VALU_DEP_3)
	v_max3_num_f32 v0, v0, v26, v27
	v_dual_cndmask_b32 v5, v1, v5 :: v_dual_lshlrev_b32 v38, 2, v4
	s_wait_loadcnt 0x6
	s_delay_alu instid0(VALU_DEP_2) | instskip(NEXT) | instid1(VALU_DEP_2)
	v_max3_num_f32 v0, v0, v28, v29
	v_lshlrev_b32_e32 v39, 2, v5
	v_xor_b32_e32 v5, 4, v1
	s_wait_loadcnt 0x4
	s_delay_alu instid0(VALU_DEP_3) | instskip(NEXT) | instid1(VALU_DEP_2)
	v_max3_num_f32 v0, v0, v30, v31
	v_cmp_gt_i32_e32 vcc_lo, 32, v5
	s_wait_loadcnt 0x2
	s_delay_alu instid0(VALU_DEP_2) | instskip(SKIP_1) | instid1(VALU_DEP_1)
	v_max3_num_f32 v0, v0, v35, v34
	s_wait_loadcnt 0x0
	v_max3_num_f32 v0, v0, v33, v32
	ds_bpermute_b32 v4, v38, v0
	s_wait_dscnt 0x0
	v_max_num_f32_e32 v4, v4, v4
	s_delay_alu instid0(VALU_DEP_1) | instskip(SKIP_3) | instid1(VALU_DEP_1)
	v_max_num_f32_e32 v0, v0, v4
	ds_bpermute_b32 v4, v39, v0
	s_wait_dscnt 0x0
	v_dual_cndmask_b32 v5, v1, v5 :: v_dual_max_num_f32 v4, v4, v4
	v_dual_lshlrev_b32 v40, 2, v5 :: v_dual_max_num_f32 v0, v0, v4
	ds_bpermute_b32 v4, v40, v0
	s_wait_dscnt 0x0
	v_dual_max_num_f32 v4, v4, v4 :: v_dual_bitop2_b32 v5, 2, v1 bitop3:0x14
	s_delay_alu instid0(VALU_DEP_1) | instskip(NEXT) | instid1(VALU_DEP_2)
	v_cmp_gt_i32_e32 vcc_lo, 32, v5
	v_dual_max_num_f32 v0, v0, v4 :: v_dual_cndmask_b32 v5, v1, v5
	s_delay_alu instid0(VALU_DEP_1) | instskip(SKIP_1) | instid1(VALU_DEP_1)
	v_lshlrev_b32_e32 v41, 2, v5
	v_xor_b32_e32 v5, 1, v1
	v_cmp_gt_i32_e32 vcc_lo, 32, v5
	v_cndmask_b32_e32 v1, v1, v5, vcc_lo
	ds_bpermute_b32 v4, v41, v0
	s_wait_dscnt 0x0
	v_dual_lshlrev_b32 v42, 2, v1 :: v_dual_max_num_f32 v4, v4, v4
	s_delay_alu instid0(VALU_DEP_1) | instskip(SKIP_3) | instid1(VALU_DEP_1)
	v_max_num_f32_e32 v0, v0, v4
	ds_bpermute_b32 v1, v42, v0
	s_wait_dscnt 0x0
	v_max_num_f32_e32 v1, v1, v1
	v_max_num_f32_e32 v0, v0, v1
	s_delay_alu instid0(VALU_DEP_1) | instskip(NEXT) | instid1(VALU_DEP_1)
	v_sub_f32_e32 v7, v22, v0
	v_mul_f32_e32 v47, 0x3fb8aa3b, v7
	v_dual_sub_f32 v1, v37, v0 :: v_dual_sub_f32 v4, v36, v0
	v_dual_sub_f32 v13, v28, v0 :: v_dual_sub_f32 v14, v29, v0
	;; [unrolled: 1-line block ×7, first 2 shown]
	v_sub_f32_e32 v16, v31, v0
	v_dual_sub_f32 v17, v35, v0 :: v_dual_sub_f32 v18, v34, v0
	s_delay_alu instid0(VALU_DEP_4)
	v_dual_mul_f32 v0, 0x3fb8aa3b, v1 :: v_dual_mul_f32 v51, 0x3fb8aa3b, v11
	v_dual_mul_f32 v54, 0x3fb8aa3b, v14 :: v_dual_mul_f32 v59, 0x3fb8aa3b, v19
	;; [unrolled: 1-line block ×5, first 2 shown]
	v_fma_f32 v61, 0x3fb8aa3b, v1, -v0
	v_rndne_f32_e32 v62, v0
	v_rndne_f32_e32 v97, v59
	v_mul_f32_e32 v60, 0x3fb8aa3b, v43
	v_dual_mul_f32 v46, 0x3fb8aa3b, v6 :: v_dual_mul_f32 v49, 0x3fb8aa3b, v9
	v_fma_f32 v63, 0x3fb8aa3b, v4, -v44
	v_rndne_f32_e32 v64, v44
	v_fma_f32 v76, 0x3fb8aa3b, v10, -v50
	v_rndne_f32_e32 v77, v50
	v_rndne_f32_e32 v91, v57
	v_fma_f32 v96, 0x3fb8aa3b, v19, -v59
	v_dual_fmac_f32 v61, 0x32a5705f, v1 :: v_dual_sub_f32 v0, v0, v62
	v_sub_f32_e32 v59, v59, v97
	v_rndne_f32_e32 v99, v60
	v_fma_f32 v65, 0x3fb8aa3b, v5, -v45
	v_rndne_f32_e32 v67, v45
	v_fma_f32 v68, 0x3fb8aa3b, v6, -v46
	;; [unrolled: 2-line block ×3, first 2 shown]
	v_rndne_f32_e32 v75, v49
	v_rndne_f32_e32 v85, v54
	v_fma_f32 v90, 0x3fb8aa3b, v17, -v57
	v_fma_f32 v98, 0x3fb8aa3b, v43, -v60
	v_dual_fmac_f32 v63, 0x32a5705f, v4 :: v_dual_fmac_f32 v68, 0x32a5705f, v6
	v_dual_sub_f32 v44, v44, v64 :: v_dual_fmac_f32 v65, 0x32a5705f, v5
	v_dual_fmac_f32 v76, 0x32a5705f, v10 :: v_dual_sub_f32 v57, v57, v91
	v_dual_sub_f32 v50, v50, v77 :: v_dual_sub_f32 v60, v60, v99
	v_add_f32_e32 v0, v0, v61
	v_dual_mul_f32 v56, 0x3fb8aa3b, v16 :: v_dual_sub_f32 v45, v45, v67
	v_fma_f32 v70, 0x3fb8aa3b, v7, -v47
	v_fma_f32 v80, 0x3fb8aa3b, v12, -v52
	;; [unrolled: 1-line block ×3, first 2 shown]
	v_rndne_f32_e32 v87, v55
	v_dual_sub_f32 v46, v46, v69 :: v_dual_sub_f32 v49, v49, v75
	v_fmac_f32_e32 v74, 0x32a5705f, v9
	v_dual_sub_f32 v54, v54, v85 :: v_dual_add_f32 v44, v44, v63
	v_add_f32_e32 v50, v50, v76
	v_exp_f32_e32 v0, v0
	v_cvt_i32_f32_e32 v62, v62
	v_fma_f32 v86, 0x3fb8aa3b, v15, -v55
	v_dual_fmac_f32 v70, 0x32a5705f, v7 :: v_dual_add_f32 v45, v45, v65
	v_dual_sub_f32 v55, v55, v87 :: v_dual_fmac_f32 v80, 0x32a5705f, v12
	v_add_f32_e32 v49, v49, v74
	v_exp_f32_e32 v44, v44
	v_cvt_i32_f32_e32 v64, v64
	v_ldexp_f32 v0, v0, v62
	v_cmp_ngt_f32_e32 vcc_lo, 0xc2ce8ed0, v1
	v_exp_f32_e32 v45, v45
	v_exp_f32_e32 v49, v49
	v_rndne_f32_e32 v71, v47
	v_mul_f32_e32 v58, 0x3fb8aa3b, v18
	v_cvt_i32_f32_e32 v67, v67
	v_cvt_i32_f32_e32 v75, v75
	v_ldexp_f32 v44, v44, v64
	v_cndmask_b32_e32 v0, 0, v0, vcc_lo
	v_cmp_ngt_f32_e32 vcc_lo, 0xc2ce8ed0, v4
	v_rndne_f32_e32 v89, v56
	v_sub_f32_e32 v47, v47, v71
	v_fma_f32 v94, 0x3fb8aa3b, v18, -v58
	v_ldexp_f32 v45, v45, v67
	v_ldexp_f32 v49, v49, v75
	v_cndmask_b32_e32 v44, 0, v44, vcc_lo
	v_cmp_ngt_f32_e32 vcc_lo, 0xc2ce8ed0, v5
	v_fma_f32 v88, 0x3fb8aa3b, v16, -v56
	v_dual_sub_f32 v56, v56, v89 :: v_dual_add_f32 v46, v46, v68
	v_dual_fmac_f32 v94, 0x32a5705f, v18 :: v_dual_cndmask_b32 v45, 0, v45
	v_cmp_nlt_f32_e32 vcc_lo, 0x42b17218, v1
	v_dual_mul_f32 v48, 0x3fb8aa3b, v8 :: v_dual_mul_f32 v53, 0x3fb8aa3b, v13
	v_fma_f32 v78, 0x3fb8aa3b, v11, -v51
	v_exp_f32_e32 v46, v46
	v_rndne_f32_e32 v81, v52
	v_cvt_i32_f32_e32 v69, v69
	v_cndmask_b32_e32 v0, 0x7f800000, v0, vcc_lo
	v_cmp_nlt_f32_e32 vcc_lo, 0x42b17218, v4
	v_fma_f32 v72, 0x3fb8aa3b, v8, -v48
	v_rndne_f32_e32 v73, v48
	v_dual_fmac_f32 v78, 0x32a5705f, v11 :: v_dual_add_f32 v47, v47, v70
	v_rndne_f32_e32 v79, v51
	v_fma_f32 v82, 0x3fb8aa3b, v13, -v53
	v_rndne_f32_e32 v83, v53
	v_rndne_f32_e32 v95, v58
	v_sub_f32_e32 v52, v52, v81
	v_ldexp_f32 v46, v46, v69
	v_cndmask_b32_e32 v1, 0x7f800000, v44, vcc_lo
	v_cmp_ngt_f32_e32 vcc_lo, 0xc2ce8ed0, v6
	v_dual_fmac_f32 v72, 0x32a5705f, v8 :: v_dual_sub_f32 v51, v51, v79
	v_dual_sub_f32 v48, v48, v73 :: v_dual_sub_f32 v53, v53, v83
	v_exp_f32_e32 v47, v47
	s_delay_alu instid0(VALU_DEP_2) | instskip(SKIP_4) | instid1(VALU_DEP_4)
	v_dual_fmac_f32 v82, 0x32a5705f, v13 :: v_dual_add_f32 v51, v51, v78
	v_sub_f32_e32 v58, v58, v95
	v_cvt_i32_f32_e32 v71, v71
	v_dual_add_f32 v52, v52, v80 :: v_dual_cndmask_b32 v44, 0, v46, vcc_lo
	v_cmp_nlt_f32_e32 vcc_lo, 0x42b17218, v5
	v_dual_add_f32 v48, v48, v72 :: v_dual_add_f32 v58, v58, v94
	v_dual_fmac_f32 v86, 0x32a5705f, v15 :: v_dual_add_f32 v53, v53, v82
	v_fmac_f32_e32 v88, 0x32a5705f, v16
	v_ldexp_f32 v47, v47, v71
	v_cndmask_b32_e32 v4, 0x7f800000, v45, vcc_lo
	v_cmp_ngt_f32_e32 vcc_lo, 0xc2ce8ed0, v7
	v_exp_f32_e32 v48, v48
	v_cvt_i32_f32_e32 v73, v73
	v_dual_add_f32 v55, v55, v86 :: v_dual_add_f32 v56, v56, v88
	v_cndmask_b32_e32 v46, 0, v47, vcc_lo
	v_cmp_nlt_f32_e32 vcc_lo, 0x42b17218, v6
	v_dual_fmac_f32 v98, 0x32a5705f, v43 :: v_dual_add_f32 v45, v0, v1
	s_delay_alu instid0(TRANS32_DEP_1)
	v_ldexp_f32 v48, v48, v73
	v_exp_f32_e32 v50, v50
	v_cndmask_b32_e32 v5, 0x7f800000, v44, vcc_lo
	v_cmp_ngt_f32_e32 vcc_lo, 0xc2ce8ed0, v8
	v_fmac_f32_e32 v90, 0x32a5705f, v17
	v_add_f32_e32 v44, v4, v45
	v_cvt_i32_f32_e32 v77, v77
	v_exp_f32_e32 v51, v51
	v_cndmask_b32_e32 v45, 0, v48, vcc_lo
	v_cmp_nlt_f32_e32 vcc_lo, 0x42b17218, v7
	v_add_f32_e32 v44, v5, v44
	v_ldexp_f32 v50, v50, v77
	v_cvt_i32_f32_e32 v79, v79
	v_exp_f32_e32 v52, v52
	v_cndmask_b32_e32 v6, 0x7f800000, v46, vcc_lo
	v_cmp_ngt_f32_e32 vcc_lo, 0xc2ce8ed0, v9
	v_cvt_i32_f32_e32 v81, v81
	v_ldexp_f32 v51, v51, v79
	v_dual_fmac_f32 v96, 0x32a5705f, v19 :: v_dual_add_f32 v57, v57, v90
	v_cndmask_b32_e32 v46, 0, v49, vcc_lo
	v_cmp_nlt_f32_e32 vcc_lo, 0x42b17218, v8
	v_add_f32_e32 v44, v6, v44
	v_ldexp_f32 v52, v52, v81
	v_dual_fmac_f32 v84, 0x32a5705f, v14 :: v_dual_add_f32 v59, v59, v96
	v_cndmask_b32_e32 v7, 0x7f800000, v45, vcc_lo
	v_cmp_ngt_f32_e32 vcc_lo, 0xc2ce8ed0, v10
	v_exp_f32_e32 v53, v53
	v_cvt_i32_f32_e32 v83, v83
	v_dual_add_f32 v54, v54, v84 :: v_dual_add_f32 v60, v60, v98
	v_dual_cndmask_b32 v45, 0, v50 :: v_dual_add_f32 v44, v7, v44
	v_cmp_nlt_f32_e32 vcc_lo, 0x42b17218, v9
	s_delay_alu instid0(TRANS32_DEP_1) | instid1(VALU_DEP_4)
	v_ldexp_f32 v53, v53, v83
	s_delay_alu instid0(VALU_DEP_4)
	v_exp_f32_e32 v54, v54
	v_cvt_i32_f32_e32 v85, v85
	v_exp_f32_e32 v55, v55
	v_cndmask_b32_e32 v8, 0x7f800000, v46, vcc_lo
	v_cmp_ngt_f32_e32 vcc_lo, 0xc2ce8ed0, v11
	v_cvt_i32_f32_e32 v87, v87
	v_exp_f32_e32 v56, v56
	v_ldexp_f32 v54, v54, v85
	v_dual_add_f32 v44, v8, v44 :: v_dual_cndmask_b32 v46, 0, v51, vcc_lo
	v_cmp_nlt_f32_e32 vcc_lo, 0x42b17218, v10
	v_cvt_i32_f32_e32 v89, v89
	v_ldexp_f32 v55, v55, v87
	v_exp_f32_e32 v57, v57
	v_cvt_i32_f32_e32 v91, v91
	v_cndmask_b32_e32 v9, 0x7f800000, v45, vcc_lo
	v_cmp_ngt_f32_e32 vcc_lo, 0xc2ce8ed0, v12
	v_ldexp_f32 v56, v56, v89
	v_exp_f32_e32 v58, v58
	v_cvt_i32_f32_e32 v95, v95
	v_ldexp_f32 v57, v57, v91
	v_cndmask_b32_e32 v45, 0, v52, vcc_lo
	v_cmp_nlt_f32_e32 vcc_lo, 0x42b17218, v11
	v_exp_f32_e32 v59, v59
	v_cvt_i32_f32_e32 v97, v97
	v_ldexp_f32 v58, v58, v95
	v_exp_f32_e32 v60, v60
	v_cndmask_b32_e32 v10, 0x7f800000, v46, vcc_lo
	v_cmp_ngt_f32_e32 vcc_lo, 0xc2ce8ed0, v13
	v_add_f32_e32 v44, v9, v44
	v_cvt_i32_f32_e32 v99, v99
	v_ldexp_f32 v59, v59, v97
	v_cndmask_b32_e32 v46, 0, v53, vcc_lo
	v_cmp_nlt_f32_e32 vcc_lo, 0x42b17218, v12
	v_add_f32_e32 v44, v10, v44
	v_ldexp_f32 v60, v60, v99
	v_cndmask_b32_e32 v11, 0x7f800000, v45, vcc_lo
	v_cmp_ngt_f32_e32 vcc_lo, 0xc2ce8ed0, v14
	s_delay_alu instid0(VALU_DEP_2) | instskip(SKIP_3) | instid1(VALU_DEP_2)
	v_dual_add_f32 v44, v11, v44 :: v_dual_cndmask_b32 v45, 0, v54
	v_cmp_nlt_f32_e32 vcc_lo, 0x42b17218, v13
	v_cndmask_b32_e32 v12, 0x7f800000, v46, vcc_lo
	v_cmp_ngt_f32_e32 vcc_lo, 0xc2ce8ed0, v15
	v_dual_add_f32 v44, v12, v44 :: v_dual_cndmask_b32 v46, 0, v55, vcc_lo
	v_cmp_nlt_f32_e32 vcc_lo, 0x42b17218, v14
	v_cndmask_b32_e32 v13, 0x7f800000, v45, vcc_lo
	v_cmp_ngt_f32_e32 vcc_lo, 0xc2ce8ed0, v16
	v_cndmask_b32_e32 v45, 0, v56, vcc_lo
	v_cmp_nlt_f32_e32 vcc_lo, 0x42b17218, v15
	v_cndmask_b32_e32 v14, 0x7f800000, v46, vcc_lo
	v_cmp_ngt_f32_e32 vcc_lo, 0xc2ce8ed0, v17
	v_dual_add_f32 v44, v13, v44 :: v_dual_cndmask_b32 v46, 0, v57, vcc_lo
	v_cmp_nlt_f32_e32 vcc_lo, 0x42b17218, v16
	s_delay_alu instid0(VALU_DEP_2) | instskip(SKIP_1) | instid1(VALU_DEP_2)
	v_dual_add_f32 v44, v14, v44 :: v_dual_cndmask_b32 v15, 0x7f800000, v45
	v_cmp_ngt_f32_e32 vcc_lo, 0xc2ce8ed0, v18
	v_dual_add_f32 v44, v15, v44 :: v_dual_cndmask_b32 v45, 0, v58
	v_cmp_nlt_f32_e32 vcc_lo, 0x42b17218, v17
	v_cndmask_b32_e32 v16, 0x7f800000, v46, vcc_lo
	v_cmp_ngt_f32_e32 vcc_lo, 0xc2ce8ed0, v19
	s_delay_alu instid0(VALU_DEP_2)
	v_dual_add_f32 v44, v16, v44 :: v_dual_cndmask_b32 v46, 0, v59, vcc_lo
	v_cmp_nlt_f32_e32 vcc_lo, 0x42b17218, v18
	v_cndmask_b32_e32 v17, 0x7f800000, v45, vcc_lo
	v_cmp_ngt_f32_e32 vcc_lo, 0xc2ce8ed0, v43
	v_cndmask_b32_e32 v45, 0, v60, vcc_lo
	v_cmp_nlt_f32_e32 vcc_lo, 0x42b17218, v19
	v_cndmask_b32_e32 v18, 0x7f800000, v46, vcc_lo
	v_cmp_nlt_f32_e32 vcc_lo, 0x42b17218, v43
	s_delay_alu instid0(VALU_DEP_4) | instskip(NEXT) | instid1(VALU_DEP_1)
	v_dual_add_f32 v44, v17, v44 :: v_dual_cndmask_b32 v19, 0x7f800000, v45
	v_add_f32_e32 v43, v18, v44
	s_delay_alu instid0(VALU_DEP_1)
	v_add_f32_e32 v43, v19, v43
	ds_bpermute_b32 v38, v38, v43
	s_wait_dscnt 0x0
	v_add_f32_e32 v38, v43, v38
	ds_bpermute_b32 v39, v39, v38
	s_wait_dscnt 0x0
	v_add_f32_e32 v38, v38, v39
	ds_bpermute_b32 v39, v40, v38
	s_wait_dscnt 0x0
	v_add_f32_e32 v38, v38, v39
	ds_bpermute_b32 v39, v41, v38
	s_wait_dscnt 0x0
	v_add_f32_e32 v38, v38, v39
	ds_bpermute_b32 v39, v42, v38
	s_wait_dscnt 0x0
	v_add_f32_e32 v38, v38, v39
	s_delay_alu instid0(VALU_DEP_1) | instskip(SKIP_1) | instid1(VALU_DEP_2)
	v_div_scale_f32 v39, null, v38, v38, 1.0
	v_div_scale_f32 v42, vcc_lo, 1.0, v38, 1.0
	v_rcp_f32_e32 v40, v39
	v_nop
	s_delay_alu instid0(TRANS32_DEP_1) | instskip(NEXT) | instid1(VALU_DEP_1)
	v_fma_f32 v41, -v39, v40, 1.0
	v_fmac_f32_e32 v40, v41, v40
	s_delay_alu instid0(VALU_DEP_1) | instskip(NEXT) | instid1(VALU_DEP_1)
	v_mul_f32_e32 v41, v42, v40
	v_fma_f32 v43, -v39, v41, v42
	s_delay_alu instid0(VALU_DEP_1) | instskip(NEXT) | instid1(VALU_DEP_1)
	v_fmac_f32_e32 v41, v43, v40
	v_fma_f32 v39, -v39, v41, v42
	s_delay_alu instid0(VALU_DEP_1) | instskip(NEXT) | instid1(VALU_DEP_1)
	v_div_fmas_f32 v39, v39, v40, v41
	v_div_fixup_f32 v38, v39, v38, 1.0
	s_delay_alu instid0(VALU_DEP_1)
	v_pk_mul_f32 v[0:1], v[0:1], v[38:39] op_sel_hi:[1,0]
	v_pk_mul_f32 v[4:5], v[4:5], v[38:39] op_sel_hi:[1,0]
	;; [unrolled: 1-line block ×9, first 2 shown]
	s_and_not1_b32 vcc_lo, exec_lo, s1
	s_cbranch_vccz .LBB10_5
	s_branch .LBB10_6
.LBB10_4:
                                        ; implicit-def: $vgpr19
                                        ; implicit-def: $vgpr17
                                        ; implicit-def: $vgpr15
                                        ; implicit-def: $vgpr13
                                        ; implicit-def: $vgpr11
                                        ; implicit-def: $vgpr9
                                        ; implicit-def: $vgpr7
                                        ; implicit-def: $vgpr5
                                        ; implicit-def: $vgpr1
.LBB10_5:
	s_wait_loadcnt 0x10
	v_dual_mul_f32 v0, 0xbfb8aa3b, v37 :: v_dual_mul_f32 v1, 0xbfb8aa3b, v36
	v_cmp_nlt_f32_e32 vcc_lo, 0x42ce8ed0, v37
	s_wait_loadcnt 0xf
	v_cmp_nlt_f32_e64 s1, 0x42ce8ed0, v20
	s_wait_loadcnt 0xe
	v_cmp_ngt_f32_e64 s2, 0xc2b17218, v21
	s_wait_xcnt 0x0
	v_rndne_f32_e32 v4, v0
	v_fma_f32 v5, 0xbfb8aa3b, v37, -v0
	v_rndne_f32_e32 v6, v1
	v_fma_f32 v7, 0xbfb8aa3b, v36, -v1
	s_wait_loadcnt 0xd
	v_mul_f32_e32 v8, 0xbfb8aa3b, v22
	v_dual_sub_f32 v0, v0, v4 :: v_dual_fmac_f32 v5, 0xb2a5705f, v37
	v_sub_f32_e32 v1, v1, v6
	v_fmac_f32_e32 v7, 0xb2a5705f, v36
	v_cvt_i32_f32_e32 v4, v4
	v_cvt_i32_f32_e32 v6, v6
	v_dual_add_f32 v0, v0, v5 :: v_dual_mul_f32 v5, 0xbfb8aa3b, v20
	v_rndne_f32_e32 v12, v8
	v_fma_f32 v13, 0xbfb8aa3b, v22, -v8
	s_delay_alu instid0(VALU_DEP_3) | instskip(NEXT) | instid1(VALU_DEP_3)
	v_exp_f32_e32 v0, v0
	v_rndne_f32_e32 v10, v5
	v_fma_f32 v11, 0xbfb8aa3b, v20, -v5
	s_delay_alu instid0(VALU_DEP_2) | instskip(NEXT) | instid1(TRANS32_DEP_1)
	v_dual_sub_f32 v8, v8, v12 :: v_dual_sub_f32 v5, v5, v10
	v_ldexp_f32 v0, v0, v4
	v_add_f32_e32 v1, v1, v7
	s_delay_alu instid0(VALU_DEP_4)
	v_fmac_f32_e32 v11, 0xb2a5705f, v20
	v_mul_f32_e32 v7, 0xbfb8aa3b, v21
	v_cvt_i32_f32_e32 v10, v10
	v_cndmask_b32_e32 v0, 0, v0, vcc_lo
	v_exp_f32_e32 v1, v1
	v_cmp_nlt_f32_e32 vcc_lo, 0x42ce8ed0, v36
	v_rndne_f32_e32 v4, v7
	v_add_f32_e32 v5, v5, v11
	s_delay_alu instid0(TRANS32_DEP_1) | instskip(SKIP_1) | instid1(VALU_DEP_3)
	v_ldexp_f32 v1, v1, v6
	v_fma_f32 v6, 0xbfb8aa3b, v21, -v7
	v_exp_f32_e32 v5, v5
	s_delay_alu instid0(VALU_DEP_2) | instskip(SKIP_1) | instid1(VALU_DEP_3)
	v_cndmask_b32_e32 v1, 0, v1, vcc_lo
	v_cmp_ngt_f32_e32 vcc_lo, 0xc2b17218, v37
	v_fmac_f32_e32 v6, 0xb2a5705f, v21
	s_delay_alu instid0(TRANS32_DEP_1) | instskip(SKIP_3) | instid1(VALU_DEP_1)
	v_ldexp_f32 v5, v5, v10
	v_cndmask_b32_e32 v0, 0x7f800000, v0, vcc_lo
	v_cmp_ngt_f32_e32 vcc_lo, 0xc2b17218, v36
	v_cndmask_b32_e32 v1, 0x7f800000, v1, vcc_lo
	v_pk_add_f32 v[0:1], v[0:1], 1.0 op_sel_hi:[1,0]
	s_delay_alu instid0(VALU_DEP_1) | instskip(NEXT) | instid1(VALU_DEP_2)
	v_div_scale_f32 v11, null, v0, v0, 1.0
	v_div_scale_f32 v16, null, v1, v1, 1.0
	s_delay_alu instid0(VALU_DEP_2) | instskip(NEXT) | instid1(VALU_DEP_1)
	v_rcp_f32_e32 v15, v11
	v_rcp_f32_e32 v17, v16
	s_delay_alu instid0(TRANS32_DEP_2) | instskip(SKIP_2) | instid1(TRANS32_DEP_1)
	v_fma_f32 v10, -v11, v15, 1.0
	v_sub_f32_e32 v7, v7, v4
	v_cvt_i32_f32_e32 v4, v4
	v_fma_f32 v18, -v16, v17, 1.0
	s_delay_alu instid0(VALU_DEP_4) | instskip(SKIP_2) | instid1(VALU_DEP_1)
	v_fmac_f32_e32 v15, v10, v15
	s_wait_loadcnt 0xc
	v_dual_mul_f32 v9, 0xbfb8aa3b, v23 :: v_dual_add_f32 v6, v7, v6
	v_rndne_f32_e32 v14, v9
	s_delay_alu instid0(VALU_DEP_2) | instskip(SKIP_1) | instid1(VALU_DEP_2)
	v_exp_f32_e32 v6, v6
	v_fma_f32 v7, 0xbfb8aa3b, v23, -v9
	v_sub_f32_e32 v9, v9, v14
	s_delay_alu instid0(TRANS32_DEP_1) | instskip(SKIP_3) | instid1(VALU_DEP_2)
	v_ldexp_f32 v4, v6, v4
	v_cndmask_b32_e64 v5, 0, v5, s1
	v_cmp_nlt_f32_e64 s1, 0x42ce8ed0, v21
	v_div_scale_f32 v6, vcc_lo, 1.0, v0, 1.0
	v_cndmask_b32_e64 v10, 0, v4, s1
	v_cmp_ngt_f32_e64 s1, 0xc2b17218, v20
	s_delay_alu instid0(VALU_DEP_3) | instskip(SKIP_1) | instid1(VALU_DEP_3)
	v_mul_f32_e32 v19, v6, v15
	v_fmac_f32_e32 v17, v18, v17
	v_cndmask_b32_e64 v4, 0x7f800000, v5, s1
	v_div_scale_f32 v20, s1, 1.0, v1, 1.0
	s_delay_alu instid0(VALU_DEP_4) | instskip(SKIP_1) | instid1(VALU_DEP_2)
	v_fma_f32 v18, -v11, v19, v6
	v_cndmask_b32_e64 v5, 0x7f800000, v10, s2
	v_dual_mul_f32 v10, v20, v17 :: v_dual_fmac_f32 v19, v18, v15
	s_delay_alu instid0(VALU_DEP_2) | instskip(NEXT) | instid1(VALU_DEP_2)
	v_pk_add_f32 v[4:5], v[4:5], 1.0 op_sel_hi:[1,0]
	v_fma_f32 v18, -v16, v10, v20
	s_delay_alu instid0(VALU_DEP_1) | instskip(NEXT) | instid1(VALU_DEP_1)
	v_dual_fmac_f32 v13, 0xb2a5705f, v22 :: v_dual_fmac_f32 v10, v18, v17
	v_dual_fmac_f32 v7, 0xb2a5705f, v23 :: v_dual_add_f32 v8, v8, v13
	v_fma_f32 v6, -v11, v19, v6
	v_div_scale_f32 v11, null, v4, v4, 1.0
	v_cvt_i32_f32_e32 v13, v14
	s_delay_alu instid0(VALU_DEP_4) | instskip(NEXT) | instid1(VALU_DEP_3)
	v_exp_f32_e32 v8, v8
	v_div_fmas_f32 v6, v6, v15, v19
	v_cmp_nlt_f32_e32 vcc_lo, 0x42ce8ed0, v22
	v_add_f32_e32 v7, v9, v7
	v_cvt_i32_f32_e32 v9, v12
	v_rcp_f32_e32 v12, v11
	v_div_fixup_f32 v0, v6, v0, 1.0
	v_div_scale_f32 v15, s2, 1.0, v4, 1.0
	s_delay_alu instid0(VALU_DEP_3) | instskip(SKIP_1) | instid1(TRANS32_DEP_1)
	v_ldexp_f32 v6, v8, v9
	v_fma_f32 v8, -v16, v10, v20
	v_fma_f32 v9, -v11, v12, 1.0
	s_delay_alu instid0(VALU_DEP_3) | instskip(SKIP_2) | instid1(VALU_DEP_3)
	v_cndmask_b32_e32 v6, 0, v6, vcc_lo
	v_exp_f32_e32 v7, v7
	v_cmp_nlt_f32_e32 vcc_lo, 0x42ce8ed0, v23
	v_fmac_f32_e32 v12, v9, v12
	s_delay_alu instid0(TRANS32_DEP_1) | instskip(SKIP_1) | instid1(VALU_DEP_2)
	v_ldexp_f32 v7, v7, v13
	v_div_scale_f32 v13, null, v5, v5, 1.0
	v_cndmask_b32_e32 v7, 0, v7, vcc_lo
	s_delay_alu instid0(VALU_DEP_2) | instskip(SKIP_1) | instid1(TRANS32_DEP_1)
	v_rcp_f32_e32 v14, v13
	v_cmp_ngt_f32_e32 vcc_lo, 0xc2b17218, v22
	v_fma_f32 v9, -v13, v14, 1.0
	s_wait_loadcnt 0xb
	s_delay_alu instid0(VALU_DEP_1) | instskip(SKIP_2) | instid1(VALU_DEP_2)
	v_dual_fmac_f32 v14, v9, v14 :: v_dual_mul_f32 v9, 0xbfb8aa3b, v24
	s_wait_loadcnt 0xa
	v_mul_f32_e32 v18, 0xbfb8aa3b, v25
	v_rndne_f32_e32 v20, v9
	v_cndmask_b32_e32 v6, 0x7f800000, v6, vcc_lo
	v_cmp_ngt_f32_e32 vcc_lo, 0xc2b17218, v23
	s_delay_alu instid0(VALU_DEP_4)
	v_rndne_f32_e32 v22, v18
	v_fma_f32 v21, 0xbfb8aa3b, v24, -v9
	v_sub_f32_e32 v9, v9, v20
	v_cvt_i32_f32_e32 v20, v20
	v_cndmask_b32_e32 v7, 0x7f800000, v7, vcc_lo
	s_mov_b32 vcc_lo, s1
	v_div_scale_f32 v19, s1, 1.0, v5, 1.0
	v_div_fmas_f32 v8, v8, v17, v10
	v_mul_f32_e32 v10, v15, v12
	v_cmp_nlt_f32_e32 vcc_lo, 0x42ce8ed0, v24
	s_delay_alu instid0(VALU_DEP_4) | instskip(SKIP_4) | instid1(VALU_DEP_2)
	v_mul_f32_e32 v37, v19, v14
	v_fma_f32 v23, 0xbfb8aa3b, v25, -v18
	v_sub_f32_e32 v18, v18, v22
	v_pk_add_f32 v[6:7], v[6:7], 1.0 op_sel_hi:[1,0]
	v_div_fixup_f32 v1, v8, v1, 1.0
	v_div_scale_f32 v16, null, v6, v6, 1.0
	s_delay_alu instid0(VALU_DEP_1) | instskip(SKIP_1) | instid1(TRANS32_DEP_1)
	v_rcp_f32_e32 v17, v16
	v_nop
	v_fma_f32 v36, -v16, v17, 1.0
	s_delay_alu instid0(VALU_DEP_1) | instskip(SKIP_1) | instid1(VALU_DEP_2)
	v_dual_fma_f32 v8, -v11, v10, v15 :: v_dual_fmac_f32 v17, v36, v17
	v_fmac_f32_e32 v21, 0xb2a5705f, v24
	v_dual_fmac_f32 v23, 0xb2a5705f, v25 :: v_dual_fmac_f32 v10, v8, v12
	s_delay_alu instid0(VALU_DEP_1) | instskip(SKIP_2) | instid1(VALU_DEP_3)
	v_dual_add_f32 v8, v9, v21 :: v_dual_add_f32 v9, v18, v23
	v_cvt_i32_f32_e32 v21, v22
	v_div_scale_f32 v18, s3, 1.0, v6, 1.0
	v_exp_f32_e32 v8, v8
	s_delay_alu instid0(VALU_DEP_3) | instskip(SKIP_1) | instid1(TRANS32_DEP_2)
	v_exp_f32_e32 v9, v9
	v_div_scale_f32 v22, null, v7, v7, 1.0
	v_ldexp_f32 v8, v8, v20
	v_fma_f32 v23, -v13, v37, v19
	s_delay_alu instid0(TRANS32_DEP_1) | instskip(SKIP_4) | instid1(VALU_DEP_3)
	v_ldexp_f32 v9, v9, v21
	v_mul_f32_e32 v20, v18, v17
	v_rcp_f32_e32 v21, v22
	v_cndmask_b32_e32 v8, 0, v8, vcc_lo
	v_cmp_nlt_f32_e32 vcc_lo, 0x42ce8ed0, v25
	v_dual_fmac_f32 v37, v23, v14 :: v_dual_fma_f32 v36, -v16, v20, v18
	v_fma_f32 v11, -v11, v10, v15
	v_div_scale_f32 v15, s4, 1.0, v7, 1.0
	v_cndmask_b32_e32 v9, 0, v9, vcc_lo
	v_cmp_ngt_f32_e32 vcc_lo, 0xc2b17218, v24
	v_fmac_f32_e32 v20, v36, v17
	v_fma_f32 v24, -v22, v21, 1.0
	v_cndmask_b32_e32 v8, 0x7f800000, v8, vcc_lo
	v_cmp_ngt_f32_e32 vcc_lo, 0xc2b17218, v25
	s_delay_alu instid0(VALU_DEP_3) | instskip(SKIP_4) | instid1(VALU_DEP_3)
	v_fmac_f32_e32 v21, v24, v21
	v_cndmask_b32_e32 v9, 0x7f800000, v9, vcc_lo
	s_mov_b32 vcc_lo, s2
	v_div_fmas_f32 v10, v11, v12, v10
	v_dual_fma_f32 v11, -v13, v37, v19 :: v_dual_fma_f32 v12, -v16, v20, v18
	v_pk_add_f32 v[8:9], v[8:9], 1.0 op_sel_hi:[1,0]
	s_mov_b32 vcc_lo, s1
	s_delay_alu instid0(VALU_DEP_3) | instskip(NEXT) | instid1(VALU_DEP_3)
	v_div_fixup_f32 v4, v10, v4, 1.0
	v_div_fmas_f32 v11, v11, v14, v37
	s_mov_b32 vcc_lo, s3
	v_div_scale_f32 v23, null, v8, v8, 1.0
	v_div_fmas_f32 v12, v12, v17, v20
	s_delay_alu instid0(VALU_DEP_3) | instskip(SKIP_1) | instid1(VALU_DEP_3)
	v_div_fixup_f32 v5, v11, v5, 1.0
	s_mov_b32 vcc_lo, s4
	v_rcp_f32_e32 v16, v23
	v_div_scale_f32 v24, null, v9, v9, 1.0
	v_div_fixup_f32 v6, v12, v6, 1.0
	v_div_scale_f32 v12, s1, 1.0, v8, 1.0
	s_delay_alu instid0(TRANS32_DEP_1) | instskip(NEXT) | instid1(VALU_DEP_1)
	v_fma_f32 v10, -v23, v16, 1.0
	v_fmac_f32_e32 v16, v10, v16
	s_wait_loadcnt 0x8
	v_dual_mul_f32 v10, 0xbfb8aa3b, v27 :: v_dual_mul_f32 v13, v15, v21
	s_delay_alu instid0(VALU_DEP_2) | instskip(NEXT) | instid1(VALU_DEP_2)
	v_mul_f32_e32 v20, v12, v16
	v_rndne_f32_e32 v18, v10
	v_fma_f32 v19, 0xbfb8aa3b, v27, -v10
	s_delay_alu instid0(VALU_DEP_4) | instskip(NEXT) | instid1(VALU_DEP_2)
	v_fma_f32 v14, -v22, v13, v15
	v_dual_sub_f32 v10, v10, v18 :: v_dual_fmac_f32 v19, 0xb2a5705f, v27
	v_mul_f32_e32 v11, 0xbfb8aa3b, v26
	v_cvt_i32_f32_e32 v18, v18
	s_delay_alu instid0(VALU_DEP_3) | instskip(SKIP_1) | instid1(VALU_DEP_4)
	v_add_f32_e32 v10, v10, v19
	v_fmac_f32_e32 v13, v14, v21
	v_rndne_f32_e32 v14, v11
	v_fma_f32 v17, 0xbfb8aa3b, v26, -v11
	v_rcp_f32_e32 v19, v24
	v_exp_f32_e32 v10, v10
	s_delay_alu instid0(VALU_DEP_2) | instskip(NEXT) | instid1(VALU_DEP_2)
	v_sub_f32_e32 v11, v11, v14
	v_fmac_f32_e32 v17, 0xb2a5705f, v26
	v_fma_f32 v15, -v22, v13, v15
	v_cvt_i32_f32_e32 v14, v14
	s_delay_alu instid0(TRANS32_DEP_1) | instskip(NEXT) | instid1(VALU_DEP_4)
	v_ldexp_f32 v10, v10, v18
	v_add_f32_e32 v11, v11, v17
	s_delay_alu instid0(VALU_DEP_4) | instskip(SKIP_3) | instid1(VALU_DEP_4)
	v_div_fmas_f32 v15, v15, v21, v13
	v_cmp_nlt_f32_e32 vcc_lo, 0x42ce8ed0, v26
	v_fma_f32 v17, -v23, v20, v12
	v_fma_f32 v13, -v24, v19, 1.0
	v_div_fixup_f32 v7, v15, v7, 1.0
	s_delay_alu instid0(VALU_DEP_3) | instskip(SKIP_1) | instid1(VALU_DEP_3)
	v_fmac_f32_e32 v20, v17, v16
	v_exp_f32_e32 v11, v11
	v_fmac_f32_e32 v19, v13, v19
	s_wait_loadcnt 0x7
	v_mul_f32_e32 v13, 0xbfb8aa3b, v28
	v_div_scale_f32 v17, s2, 1.0, v9, 1.0
	v_fma_f32 v12, -v23, v20, v12
	s_delay_alu instid0(TRANS32_DEP_1) | instskip(NEXT) | instid1(VALU_DEP_4)
	v_ldexp_f32 v11, v11, v14
	v_rndne_f32_e32 v18, v13
	s_delay_alu instid0(VALU_DEP_4) | instskip(NEXT) | instid1(VALU_DEP_3)
	v_mul_f32_e32 v23, v17, v19
	v_cndmask_b32_e32 v11, 0, v11, vcc_lo
	v_cmp_nlt_f32_e32 vcc_lo, 0x42ce8ed0, v27
	v_cndmask_b32_e32 v14, 0, v10, vcc_lo
	v_cmp_ngt_f32_e32 vcc_lo, 0xc2b17218, v26
	s_delay_alu instid0(VALU_DEP_4) | instskip(SKIP_1) | instid1(VALU_DEP_4)
	v_cndmask_b32_e32 v10, 0x7f800000, v11, vcc_lo
	v_cmp_ngt_f32_e32 vcc_lo, 0xc2b17218, v27
	v_cndmask_b32_e32 v11, 0x7f800000, v14, vcc_lo
	s_wait_loadcnt 0x6
	v_mul_f32_e32 v14, 0xbfb8aa3b, v29
	v_fma_f32 v21, 0xbfb8aa3b, v28, -v13
	v_sub_f32_e32 v13, v13, v18
	s_mov_b32 vcc_lo, s1
	v_pk_add_f32 v[10:11], v[10:11], 1.0 op_sel_hi:[1,0]
	v_rndne_f32_e32 v22, v14
	v_fmac_f32_e32 v21, 0xb2a5705f, v28
	v_fma_f32 v25, 0xbfb8aa3b, v29, -v14
	v_div_fmas_f32 v16, v12, v16, v20
	v_div_scale_f32 v26, null, v10, v10, 1.0
	s_delay_alu instid0(VALU_DEP_4) | instskip(SKIP_1) | instid1(VALU_DEP_3)
	v_dual_sub_f32 v14, v14, v22 :: v_dual_add_f32 v13, v13, v21
	v_fma_f32 v20, -v24, v23, v17
	v_rcp_f32_e32 v27, v26
	v_cvt_i32_f32_e32 v18, v18
	v_cmp_nlt_f32_e32 vcc_lo, 0x42ce8ed0, v28
	v_exp_f32_e32 v13, v13
	v_cvt_i32_f32_e32 v21, v22
	v_div_scale_f32 v22, s1, 1.0, v10, 1.0
	s_delay_alu instid0(TRANS32_DEP_2) | instskip(SKIP_1) | instid1(VALU_DEP_2)
	v_fma_f32 v12, -v26, v27, 1.0
	v_div_fixup_f32 v8, v16, v8, 1.0
	v_fmac_f32_e32 v27, v12, v27
	s_delay_alu instid0(TRANS32_DEP_1) | instskip(SKIP_2) | instid1(VALU_DEP_2)
	v_ldexp_f32 v12, v13, v18
	v_fmac_f32_e32 v25, 0xb2a5705f, v29
	v_div_scale_f32 v18, null, v11, v11, 1.0
	v_dual_cndmask_b32 v12, 0, v12, vcc_lo :: v_dual_add_f32 v14, v14, v25
	v_cmp_nlt_f32_e32 vcc_lo, 0x42ce8ed0, v29
	s_delay_alu instid0(VALU_DEP_2) | instskip(SKIP_1) | instid1(TRANS32_DEP_1)
	v_exp_f32_e32 v14, v14
	v_nop
	v_ldexp_f32 v13, v14, v21
	v_rcp_f32_e32 v21, v18
	s_delay_alu instid0(VALU_DEP_1) | instskip(SKIP_3) | instid1(TRANS32_DEP_1)
	v_cndmask_b32_e32 v13, 0, v13, vcc_lo
	v_cmp_ngt_f32_e32 vcc_lo, 0xc2b17218, v28
	v_mul_f32_e32 v25, v22, v27
	v_fmac_f32_e32 v23, v20, v19
	v_fma_f32 v15, -v18, v21, 1.0
	v_div_scale_f32 v20, s3, 1.0, v11, 1.0
	v_cndmask_b32_e32 v12, 0x7f800000, v12, vcc_lo
	v_cmp_ngt_f32_e32 vcc_lo, 0xc2b17218, v29
	v_fma_f32 v14, -v26, v25, v22
	v_cndmask_b32_e32 v13, 0x7f800000, v13, vcc_lo
	s_wait_loadcnt 0x5
	s_delay_alu instid0(VALU_DEP_2) | instskip(SKIP_3) | instid1(VALU_DEP_3)
	v_dual_fmac_f32 v25, v14, v27 :: v_dual_mul_f32 v14, 0xbfb8aa3b, v30
	v_fma_f32 v16, -v24, v23, v17
	s_mov_b32 vcc_lo, s2
	v_pk_add_f32 v[12:13], v[12:13], 1.0 op_sel_hi:[1,0]
	v_fma_f32 v28, 0xbfb8aa3b, v30, -v14
	s_delay_alu instid0(VALU_DEP_3) | instskip(SKIP_1) | instid1(VALU_DEP_4)
	v_div_fmas_f32 v16, v16, v19, v23
	v_fma_f32 v19, -v26, v25, v22
	v_div_scale_f32 v17, null, v12, v12, 1.0
	v_rndne_f32_e32 v26, v14
	v_dual_fmac_f32 v21, v15, v21 :: v_dual_fmac_f32 v28, 0xb2a5705f, v30
	s_delay_alu instid0(VALU_DEP_3)
	v_rcp_f32_e32 v24, v17
	v_cmp_nlt_f32_e32 vcc_lo, 0x42ce8ed0, v30
	s_wait_loadcnt 0x4
	v_dual_sub_f32 v14, v14, v26 :: v_dual_mul_f32 v15, 0xbfb8aa3b, v31
	v_mul_f32_e32 v22, v20, v21
	v_cvt_i32_f32_e32 v26, v26
	v_div_fixup_f32 v9, v16, v9, 1.0
	v_fma_f32 v23, -v17, v24, 1.0
	v_add_f32_e32 v14, v14, v28
	v_rndne_f32_e32 v29, v15
	v_fma_f32 v36, 0xbfb8aa3b, v31, -v15
	v_fma_f32 v37, -v18, v22, v20
	v_fmac_f32_e32 v24, v23, v24
	v_div_scale_f32 v23, null, v13, v13, 1.0
	s_delay_alu instid0(VALU_DEP_4) | instskip(SKIP_3) | instid1(VALU_DEP_3)
	v_dual_sub_f32 v15, v15, v29 :: v_dual_fmac_f32 v36, 0xb2a5705f, v31
	v_exp_f32_e32 v14, v14
	v_div_scale_f32 v28, s2, 1.0, v12, 1.0
	v_cvt_i32_f32_e32 v29, v29
	v_add_f32_e32 v15, v15, v36
	v_rcp_f32_e32 v36, v23
	s_delay_alu instid0(VALU_DEP_3) | instskip(NEXT) | instid1(TRANS32_DEP_2)
	v_dual_mul_f32 v38, v28, v24 :: v_dual_fmac_f32 v22, v37, v21
	v_ldexp_f32 v14, v14, v26
	s_delay_alu instid0(VALU_DEP_3) | instskip(NEXT) | instid1(TRANS32_DEP_2)
	v_exp_f32_e32 v15, v15
	v_fma_f32 v39, -v23, v36, 1.0
	s_delay_alu instid0(VALU_DEP_2) | instskip(SKIP_1) | instid1(TRANS32_DEP_1)
	v_cndmask_b32_e32 v14, 0, v14, vcc_lo
	v_cmp_nlt_f32_e32 vcc_lo, 0x42ce8ed0, v31
	v_ldexp_f32 v15, v15, v29
	s_delay_alu instid0(VALU_DEP_4) | instskip(SKIP_2) | instid1(VALU_DEP_4)
	v_fmac_f32_e32 v36, v39, v36
	v_fma_f32 v26, -v17, v38, v28
	v_div_scale_f32 v29, s4, 1.0, v13, 1.0
	v_cndmask_b32_e32 v15, 0, v15, vcc_lo
	v_cmp_ngt_f32_e32 vcc_lo, 0xc2b17218, v30
	s_delay_alu instid0(VALU_DEP_3) | instskip(SKIP_3) | instid1(VALU_DEP_3)
	v_dual_fma_f32 v18, -v18, v22, v20 :: v_dual_mul_f32 v20, v29, v36
	v_fmac_f32_e32 v38, v26, v24
	v_cndmask_b32_e32 v14, 0x7f800000, v14, vcc_lo
	v_cmp_ngt_f32_e32 vcc_lo, 0xc2b17218, v31
	v_fma_f32 v17, -v17, v38, v28
	v_cndmask_b32_e32 v15, 0x7f800000, v15, vcc_lo
	s_mov_b32 vcc_lo, s1
	s_wait_loadcnt 0x3
	v_cmp_nlt_f32_e64 s1, 0x42ce8ed0, v35
	v_div_fmas_f32 v19, v19, v27, v25
	s_mov_b32 vcc_lo, s3
	v_pk_add_f32 v[14:15], v[14:15], 1.0 op_sel_hi:[1,0]
	v_div_fmas_f32 v18, v18, v21, v22
	s_mov_b32 vcc_lo, s2
	v_fma_f32 v22, -v23, v20, v29
	v_div_fmas_f32 v17, v17, v24, v38
	v_div_scale_f32 v21, null, v14, v14, 1.0
	v_div_fixup_f32 v11, v18, v11, 1.0
	v_mul_f32_e32 v18, 0xbfb8aa3b, v35
	v_div_fixup_f32 v10, v19, v10, 1.0
	s_delay_alu instid0(VALU_DEP_4)
	v_rcp_f32_e32 v24, v21
	v_div_fixup_f32 v12, v17, v12, 1.0
	s_mov_b32 vcc_lo, s4
	v_fma_f32 v19, 0xbfb8aa3b, v35, -v18
	v_fmac_f32_e32 v20, v22, v36
	s_wait_loadcnt 0x0
	v_mul_f32_e32 v27, 0xbfb8aa3b, v32
	v_fma_f32 v17, -v21, v24, 1.0
	v_fmac_f32_e32 v19, 0xb2a5705f, v35
	s_delay_alu instid0(VALU_DEP_3) | instskip(NEXT) | instid1(VALU_DEP_3)
	v_fma_f32 v30, 0xbfb8aa3b, v32, -v27
	v_fmac_f32_e32 v24, v17, v24
	v_rndne_f32_e32 v17, v18
	v_fma_f32 v16, -v23, v20, v29
	v_rndne_f32_e32 v29, v27
	s_delay_alu instid0(VALU_DEP_3) | instskip(NEXT) | instid1(VALU_DEP_3)
	v_sub_f32_e32 v18, v18, v17
	v_div_fmas_f32 v16, v16, v36, v20
	v_mul_f32_e32 v20, 0xbfb8aa3b, v34
	v_div_scale_f32 v22, vcc_lo, 1.0, v14, 1.0
	v_cvt_i32_f32_e32 v17, v17
	s_delay_alu instid0(VALU_DEP_4) | instskip(NEXT) | instid1(VALU_DEP_4)
	v_div_fixup_f32 v13, v16, v13, 1.0
	v_rndne_f32_e32 v23, v20
	v_fma_f32 v25, 0xbfb8aa3b, v34, -v20
	v_add_f32_e32 v16, v18, v19
	s_delay_alu instid0(VALU_DEP_3) | instskip(NEXT) | instid1(VALU_DEP_3)
	v_dual_mul_f32 v26, v22, v24 :: v_dual_sub_f32 v18, v20, v23
	v_fmac_f32_e32 v25, 0xb2a5705f, v34
	v_div_scale_f32 v20, null, v15, v15, 1.0
	s_delay_alu instid0(VALU_DEP_3) | instskip(SKIP_1) | instid1(VALU_DEP_3)
	v_fma_f32 v19, -v21, v26, v22
	v_exp_f32_e32 v16, v16
	v_add_f32_e32 v18, v18, v25
	s_delay_alu instid0(VALU_DEP_3) | instskip(NEXT) | instid1(VALU_DEP_2)
	v_rcp_f32_e32 v25, v20
	v_dual_fmac_f32 v26, v19, v24 :: v_dual_mul_f32 v19, 0xbfb8aa3b, v33
	s_delay_alu instid0(VALU_DEP_2) | instskip(NEXT) | instid1(TRANS32_DEP_3)
	v_exp_f32_e32 v18, v18
	v_ldexp_f32 v16, v16, v17
	v_cvt_i32_f32_e32 v17, v23
	s_delay_alu instid0(VALU_DEP_3)
	v_rndne_f32_e32 v23, v19
	v_fma_f32 v28, 0xbfb8aa3b, v33, -v19
	s_delay_alu instid0(TRANS32_DEP_1) | instid1(VALU_DEP_3)
	v_ldexp_f32 v17, v18, v17
	s_delay_alu instid0(VALU_DEP_3)
	v_dual_cndmask_b32 v16, 0, v16, s1 :: v_dual_sub_f32 v18, v19, v23
	v_dual_sub_f32 v19, v27, v29 :: v_dual_fma_f32 v21, -v21, v26, v22
	v_fma_f32 v22, -v20, v25, 1.0
	v_fmac_f32_e32 v30, 0xb2a5705f, v32
	v_cvt_i32_f32_e32 v27, v29
	v_cmp_nlt_f32_e64 s1, 0x42ce8ed0, v34
	v_cvt_i32_f32_e32 v23, v23
	v_fmac_f32_e32 v25, v22, v25
	v_dual_fmac_f32 v28, 0xb2a5705f, v33 :: v_dual_add_f32 v19, v19, v30
	s_delay_alu instid0(VALU_DEP_4) | instskip(SKIP_4) | instid1(VALU_DEP_3)
	v_cndmask_b32_e64 v17, 0, v17, s1
	v_cmp_ngt_f32_e64 s1, 0xc2b17218, v35
	v_div_fmas_f32 v21, v21, v24, v26
	v_div_scale_f32 v22, vcc_lo, 1.0, v15, 1.0
	v_exp_f32_e32 v19, v19
	v_cndmask_b32_e64 v16, 0x7f800000, v16, s1
	v_cmp_ngt_f32_e64 s1, 0xc2b17218, v34
	v_div_fixup_f32 v14, v21, v14, 1.0
	v_mul_f32_e32 v21, v22, v25
	s_delay_alu instid0(TRANS32_DEP_1) | instskip(SKIP_3) | instid1(VALU_DEP_3)
	v_ldexp_f32 v19, v19, v27
	v_add_f32_e32 v18, v18, v28
	v_cndmask_b32_e64 v17, 0x7f800000, v17, s1
	v_cmp_nlt_f32_e64 s1, 0x42ce8ed0, v33
	v_exp_f32_e32 v18, v18
	s_delay_alu instid0(VALU_DEP_2) | instskip(NEXT) | instid1(VALU_DEP_1)
	v_pk_add_f32 v[16:17], v[16:17], 1.0 op_sel_hi:[1,0]
	v_div_scale_f32 v26, null, v17, v17, 1.0
	s_delay_alu instid0(TRANS32_DEP_1) | instskip(NEXT) | instid1(VALU_DEP_3)
	v_ldexp_f32 v18, v18, v23
	v_div_scale_f32 v23, null, v16, v16, 1.0
	s_delay_alu instid0(VALU_DEP_3) | instskip(NEXT) | instid1(VALU_DEP_2)
	v_rcp_f32_e32 v29, v26
	v_cndmask_b32_e64 v18, 0, v18, s1
	v_cmp_nlt_f32_e64 s1, 0x42ce8ed0, v32
	s_delay_alu instid0(VALU_DEP_3) | instskip(NEXT) | instid1(VALU_DEP_1)
	v_rcp_f32_e32 v27, v23
	v_cndmask_b32_e64 v19, 0, v19, s1
	v_cmp_ngt_f32_e64 s1, 0xc2b17218, v33
	s_delay_alu instid0(TRANS32_DEP_1) | instskip(NEXT) | instid1(VALU_DEP_2)
	v_fma_f32 v24, -v23, v27, 1.0
	v_cndmask_b32_e64 v18, 0x7f800000, v18, s1
	v_cmp_ngt_f32_e64 s1, 0xc2b17218, v32
	s_delay_alu instid0(VALU_DEP_3) | instskip(SKIP_1) | instid1(VALU_DEP_3)
	v_fmac_f32_e32 v27, v24, v27
	v_fma_f32 v32, -v26, v29, 1.0
	v_cndmask_b32_e64 v19, 0x7f800000, v19, s1
	v_div_scale_f32 v30, s1, 1.0, v16, 1.0
	v_fma_f32 v33, -v20, v21, v22
	s_delay_alu instid0(VALU_DEP_3) | instskip(NEXT) | instid1(VALU_DEP_2)
	v_pk_add_f32 v[18:19], v[18:19], 1.0 op_sel_hi:[1,0]
	v_dual_mul_f32 v34, v30, v27 :: v_dual_fmac_f32 v21, v33, v25
	s_delay_alu instid0(VALU_DEP_2) | instskip(NEXT) | instid1(VALU_DEP_3)
	v_div_scale_f32 v28, null, v18, v18, 1.0
	v_div_scale_f32 v31, null, v19, v19, 1.0
	s_delay_alu instid0(VALU_DEP_3) | instskip(NEXT) | instid1(VALU_DEP_3)
	v_fma_f32 v33, -v23, v34, v30
	v_rcp_f32_e32 v24, v28
	v_fma_f32 v20, -v20, v21, v22
	s_delay_alu instid0(VALU_DEP_3) | instskip(NEXT) | instid1(VALU_DEP_1)
	v_rcp_f32_e32 v36, v31
	v_div_fmas_f32 v20, v20, v25, v21
	s_delay_alu instid0(TRANS32_DEP_2) | instskip(SKIP_2) | instid1(TRANS32_DEP_1)
	v_fma_f32 v35, -v28, v24, 1.0
	v_fmac_f32_e32 v29, v32, v29
	v_div_scale_f32 v32, s2, 1.0, v17, 1.0
	v_fma_f32 v37, -v31, v36, 1.0
	s_delay_alu instid0(VALU_DEP_4) | instskip(SKIP_1) | instid1(VALU_DEP_3)
	v_fmac_f32_e32 v24, v35, v24
	v_div_scale_f32 v35, s3, 1.0, v18, 1.0
	v_dual_mul_f32 v38, v32, v29 :: v_dual_fmac_f32 v36, v37, v36
	v_div_scale_f32 v37, s4, 1.0, v19, 1.0
	s_delay_alu instid0(VALU_DEP_3) | instskip(NEXT) | instid1(VALU_DEP_2)
	v_dual_mul_f32 v39, v35, v24 :: v_dual_fmac_f32 v34, v33, v27
	v_dual_fma_f32 v22, -v26, v38, v32 :: v_dual_mul_f32 v40, v37, v36
	s_mov_b32 vcc_lo, s1
	s_delay_alu instid0(VALU_DEP_2) | instskip(NEXT) | instid1(VALU_DEP_2)
	v_dual_fma_f32 v33, -v28, v39, v35 :: v_dual_fma_f32 v21, -v23, v34, v30
	v_dual_fmac_f32 v38, v22, v29 :: v_dual_fma_f32 v22, -v31, v40, v37
	v_div_fixup_f32 v15, v20, v15, 1.0
	s_delay_alu instid0(VALU_DEP_3) | instskip(NEXT) | instid1(VALU_DEP_4)
	v_fmac_f32_e32 v39, v33, v24
	v_div_fmas_f32 v21, v21, v27, v34
	s_delay_alu instid0(VALU_DEP_4)
	v_fma_f32 v23, -v26, v38, v32
	v_fmac_f32_e32 v40, v22, v36
	s_mov_b32 vcc_lo, s2
	v_fma_f32 v22, -v28, v39, v35
	v_div_fixup_f32 v16, v21, v16, 1.0
	v_div_fmas_f32 v23, v23, v29, v38
	v_fma_f32 v25, -v31, v40, v37
	s_mov_b32 vcc_lo, s3
	v_div_fmas_f32 v22, v22, v24, v39
	s_mov_b32 vcc_lo, s4
	v_div_fixup_f32 v17, v23, v17, 1.0
	v_div_fmas_f32 v24, v25, v36, v40
	s_delay_alu instid0(VALU_DEP_3) | instskip(NEXT) | instid1(VALU_DEP_2)
	v_div_fixup_f32 v18, v22, v18, 1.0
	v_div_fixup_f32 v19, v24, v19, 1.0
.LBB10_6:
	s_wait_loadcnt 0x10
	v_dual_mov_b32 v37, v0 :: v_dual_mov_b32 v36, v1
	s_wait_loadcnt 0xe
	v_dual_mov_b32 v20, v4 :: v_dual_mov_b32 v21, v5
	;; [unrolled: 2-line block ×9, first 2 shown]
.LBB10_7:
	s_lshr_b32 s1, s5, 8
	s_cmp_gt_i32 s29, 0
	s_mov_b32 s2, 0
	s_cbranch_scc1 .LBB10_9
; %bb.8:
	s_bitcmp1_b32 s1, 0
	s_cselect_b32 s11, -1, 0
	s_branch .LBB10_10
.LBB10_9:
	s_mov_b32 s2, -1
                                        ; implicit-def: $sgpr11
.LBB10_10:
	v_dual_add_nc_u32 v110, 32, v93 :: v_dual_add_nc_u32 v109, 64, v93
	v_add_nc_u32_e32 v108, 0x60, v93
	v_add_nc_u32_e32 v107, 0x80, v93
	;; [unrolled: 1-line block ×15, first 2 shown]
	v_mbcnt_lo_u32_b32 v67, -1, 0
	s_and_not1_b32 vcc_lo, exec_lo, s2
	s_mov_b32 s10, 0
	s_cbranch_vccnz .LBB10_37
; %bb.11:
	s_clause 0x11
	global_load_b32 v38, v93, s[26:27] scale_offset
	global_load_b32 v39, v93, s[26:27] offset:128 scale_offset
	global_load_b32 v40, v93, s[26:27] offset:256 scale_offset
	;; [unrolled: 1-line block ×17, first 2 shown]
	s_wait_loadcnt 0x23
	v_cmp_o_f32_e32 vcc_lo, v37, v37
	v_lshl_add_u64 v[72:73], v[2:3], 2, s[24:25]
	v_xor_b32_e32 v2, 8, v67
	v_xor_b32_e32 v1, 16, v67
	s_bitcmp1_b32 s1, 0
	v_cndmask_b32_e32 v18, 0xff7fffff, v37, vcc_lo
	s_wait_loadcnt 0x22
	v_cmp_o_f32_e32 vcc_lo, v36, v36
	s_cselect_b32 s11, -1, 0
	v_dual_mov_b32 v0, 0 :: v_dual_cndmask_b32 v19, 0xff7fffff, v36
	s_wait_loadcnt 0x21
	v_cmp_o_f32_e32 vcc_lo, v20, v20
	v_cndmask_b32_e32 v20, 0xff7fffff, v20, vcc_lo
	s_wait_loadcnt 0x20
	v_cmp_o_f32_e32 vcc_lo, v21, v21
	v_cndmask_b32_e32 v21, 0xff7fffff, v21, vcc_lo
	s_wait_loadcnt 0x1f
	v_cmp_o_f32_e32 vcc_lo, v22, v22
	v_cndmask_b32_e32 v22, 0xff7fffff, v22, vcc_lo
	s_wait_loadcnt 0x1e
	v_cmp_o_f32_e32 vcc_lo, v23, v23
	v_cndmask_b32_e32 v23, 0xff7fffff, v23, vcc_lo
	s_wait_loadcnt 0x1d
	v_cmp_o_f32_e32 vcc_lo, v24, v24
	v_cndmask_b32_e32 v24, 0xff7fffff, v24, vcc_lo
	s_wait_loadcnt 0x1c
	v_cmp_o_f32_e32 vcc_lo, v25, v25
	v_cndmask_b32_e32 v25, 0xff7fffff, v25, vcc_lo
	s_wait_loadcnt 0x1b
	v_cmp_o_f32_e32 vcc_lo, v26, v26
	v_cndmask_b32_e32 v26, 0xff7fffff, v26, vcc_lo
	s_wait_loadcnt 0x1a
	v_cmp_o_f32_e32 vcc_lo, v27, v27
	v_cndmask_b32_e32 v27, 0xff7fffff, v27, vcc_lo
	s_wait_loadcnt 0x19
	v_cmp_o_f32_e32 vcc_lo, v28, v28
	v_cndmask_b32_e32 v28, 0xff7fffff, v28, vcc_lo
	s_wait_loadcnt 0x18
	v_cmp_o_f32_e32 vcc_lo, v29, v29
	v_cndmask_b32_e32 v29, 0xff7fffff, v29, vcc_lo
	s_wait_loadcnt 0x17
	v_cmp_o_f32_e32 vcc_lo, v30, v30
	v_cndmask_b32_e32 v30, 0xff7fffff, v30, vcc_lo
	s_wait_loadcnt 0x16
	v_cmp_o_f32_e32 vcc_lo, v31, v31
	v_cndmask_b32_e32 v31, 0xff7fffff, v31, vcc_lo
	s_wait_loadcnt 0x15
	v_cmp_o_f32_e32 vcc_lo, v35, v35
	v_cndmask_b32_e32 v68, 0xff7fffff, v35, vcc_lo
	s_wait_loadcnt 0x14
	v_cmp_o_f32_e32 vcc_lo, v34, v34
	v_cndmask_b32_e32 v69, 0xff7fffff, v34, vcc_lo
	s_wait_loadcnt 0x13
	v_cmp_o_f32_e32 vcc_lo, v33, v33
	v_cndmask_b32_e32 v70, 0xff7fffff, v33, vcc_lo
	s_wait_loadcnt 0x12
	v_cmp_o_f32_e32 vcc_lo, v32, v32
	v_dual_cndmask_b32 v71, 0xff7fffff, v32 :: v_dual_mov_b32 v32, 0
	v_cmp_gt_i32_e32 vcc_lo, 32, v1
	s_delay_alu instid0(VALU_DEP_2)
	v_dual_mov_b32 v16, v32 :: v_dual_bitop2_b32 v5, 1, v67 bitop3:0x14
	v_xor_b32_e32 v4, 2, v67
	v_dual_cndmask_b32 v17, v67, v1, vcc_lo :: v_dual_bitop2_b32 v3, 4, v67 bitop3:0x14
	v_cmp_gt_i32_e32 vcc_lo, 32, v2
	v_dual_mov_b32 v1, v32 :: v_dual_mov_b32 v6, v32
	v_dual_mov_b32 v7, v32 :: v_dual_mov_b32 v8, v32
	v_cndmask_b32_e32 v34, v67, v2, vcc_lo
	v_cmp_gt_i32_e32 vcc_lo, 32, v3
	v_dual_mov_b32 v2, v32 :: v_dual_mov_b32 v9, v32
	v_dual_mov_b32 v10, v32 :: v_dual_mov_b32 v11, v32
	v_dual_cndmask_b32 v35, v67, v3, vcc_lo :: v_dual_lshlrev_b32 v33, 2, v17
	v_cmp_gt_i32_e32 vcc_lo, 32, v4
	v_dual_mov_b32 v3, v32 :: v_dual_mov_b32 v12, v32
	v_dual_mov_b32 v13, v32 :: v_dual_mov_b32 v14, v32
	v_cndmask_b32_e32 v36, v67, v4, vcc_lo
	v_cmp_gt_i32_e32 vcc_lo, 32, v5
	v_dual_mov_b32 v4, v32 :: v_dual_mov_b32 v15, v32
	v_dual_lshlrev_b32 v111, 2, v34 :: v_dual_lshlrev_b32 v112, 2, v35
	s_delay_alu instid0(VALU_DEP_4) | instskip(SKIP_1) | instid1(VALU_DEP_2)
	v_dual_lshlrev_b32 v113, 2, v36 :: v_dual_cndmask_b32 v37, v67, v5, vcc_lo
	v_dual_mov_b32 v5, v32 :: v_dual_mov_b32 v17, v32
	v_lshlrev_b32_e32 v114, 2, v37
	s_wait_loadcnt 0x10
	v_pk_add_f32 v[74:75], v[18:19], v[38:39]
	s_wait_loadcnt 0xe
	v_pk_add_f32 v[76:77], v[20:21], v[40:41]
	;; [unrolled: 2-line block ×9, first 2 shown]
	s_branch .LBB10_13
.LBB10_12:                              ;   in Loop: Header=BB10_13 Depth=1
	s_wait_xcnt 0x0
	s_or_b32 exec_lo, exec_lo, s1
	s_wait_dscnt 0x0
	v_mov_b64_e32 v[64:65], v[30:31]
	v_mov_b64_e32 v[34:35], v[0:1]
	s_and_b32 s1, s10, 31
	s_lshr_b32 m0, s10, 5
	v_cmp_eq_u32_e32 vcc_lo, s1, v93
	v_add_nc_u64_e32 v[72:73], 4, v[72:73]
	v_mov_b64_e32 v[62:63], v[28:29]
	v_mov_b64_e32 v[60:61], v[26:27]
	;; [unrolled: 1-line block ×14, first 2 shown]
	v_movreld_b32_e32 v34, v115
	v_dual_cndmask_b32 v17, v17, v51 :: v_dual_cndmask_b32 v16, v16, v50
	v_dual_cndmask_b32 v15, v15, v49 :: v_dual_cndmask_b32 v14, v14, v48
	;; [unrolled: 1-line block ×9, first 2 shown]
	s_add_co_i32 s10, s10, 1
	s_delay_alu instid0(SALU_CYCLE_1)
	s_cmp_eq_u32 s29, s10
	s_cbranch_scc1 .LBB10_38
.LBB10_13:                              ; =>This Inner Loop Header: Depth=1
	v_cmp_gt_f32_e32 vcc_lo, v75, v74
	v_dual_cndmask_b32 v35, v74, v75 :: v_dual_cndmask_b32 v36, v93, v110
	s_delay_alu instid0(VALU_DEP_1) | instskip(NEXT) | instid1(VALU_DEP_1)
	v_cmp_gt_f32_e64 s1, v76, v35
	v_dual_cndmask_b32 v34, v18, v19, vcc_lo :: v_dual_cndmask_b32 v35, v35, v76, s1
	s_delay_alu instid0(VALU_DEP_3) | instskip(NEXT) | instid1(VALU_DEP_2)
	v_cndmask_b32_e64 v36, v36, v109, s1
	v_cmp_gt_f32_e64 s2, v77, v35
	s_delay_alu instid0(VALU_DEP_1) | instskip(NEXT) | instid1(VALU_DEP_1)
	v_dual_cndmask_b32 v34, v34, v20, s1 :: v_dual_cndmask_b32 v35, v35, v77, s2
	v_cmp_gt_f32_e64 s3, v78, v35
	s_delay_alu instid0(VALU_DEP_1) | instskip(NEXT) | instid1(VALU_DEP_1)
	v_dual_cndmask_b32 v34, v34, v21, s2 :: v_dual_cndmask_b32 v35, v35, v78, s3
	;; [unrolled: 3-line block ×8, first 2 shown]
	v_cndmask_b32_e64 v34, v34, v28, s9
	s_delay_alu instid0(VALU_DEP_2) | instskip(NEXT) | instid1(VALU_DEP_2)
	v_cmp_gt_f32_e32 vcc_lo, v85, v35
	v_dual_cndmask_b32 v36, v36, v108, s2 :: v_dual_cndmask_b32 v34, v34, v29, vcc_lo
	s_delay_alu instid0(VALU_DEP_1) | instskip(NEXT) | instid1(VALU_DEP_1)
	v_dual_cndmask_b32 v35, v35, v85, vcc_lo :: v_dual_cndmask_b32 v36, v36, v107, s3
	v_cmp_gt_f32_e64 s1, v86, v35
	s_delay_alu instid0(VALU_DEP_1) | instskip(NEXT) | instid1(VALU_DEP_4)
	v_cndmask_b32_e64 v35, v35, v86, s1
	v_cndmask_b32_e64 v34, v34, v30, s1
	s_delay_alu instid0(VALU_DEP_2) | instskip(NEXT) | instid1(VALU_DEP_1)
	v_cmp_gt_f32_e64 s2, v87, v35
	v_dual_cndmask_b32 v36, v36, v106, s4 :: v_dual_cndmask_b32 v34, v34, v31, s2
	s_delay_alu instid0(VALU_DEP_1) | instskip(NEXT) | instid1(VALU_DEP_1)
	v_cndmask_b32_e64 v36, v36, v105, s5
	v_cndmask_b32_e64 v36, v36, v104, s6
	s_delay_alu instid0(VALU_DEP_1) | instskip(NEXT) | instid1(VALU_DEP_1)
	v_cndmask_b32_e64 v36, v36, v103, s7
	v_dual_cndmask_b32 v35, v35, v87, s2 :: v_dual_cndmask_b32 v36, v36, v102, s8
	s_delay_alu instid0(VALU_DEP_1) | instskip(NEXT) | instid1(VALU_DEP_1)
	v_cmp_gt_f32_e64 s3, v88, v35
	v_dual_cndmask_b32 v36, v36, v101, s9 :: v_dual_cndmask_b32 v35, v35, v88, s3
	v_cndmask_b32_e64 v34, v34, v68, s3
	s_delay_alu instid0(VALU_DEP_2) | instskip(NEXT) | instid1(VALU_DEP_1)
	v_cmp_gt_f32_e64 s4, v89, v35
	v_dual_cndmask_b32 v36, v36, v100, vcc_lo :: v_dual_cndmask_b32 v34, v34, v69, s4
	s_delay_alu instid0(VALU_DEP_1) | instskip(NEXT) | instid1(VALU_DEP_1)
	v_dual_cndmask_b32 v35, v35, v89, s4 :: v_dual_cndmask_b32 v36, v36, v99, s1
	v_cmp_gt_f32_e32 vcc_lo, v90, v35
	v_cndmask_b32_e32 v35, v35, v90, vcc_lo
	s_delay_alu instid0(VALU_DEP_4) | instskip(NEXT) | instid1(VALU_DEP_2)
	v_cndmask_b32_e32 v34, v34, v70, vcc_lo
	v_cmp_gt_f32_e64 s1, v91, v35
	s_delay_alu instid0(VALU_DEP_1) | instskip(NEXT) | instid1(VALU_DEP_1)
	v_dual_cndmask_b32 v36, v36, v98, s2 :: v_dual_cndmask_b32 v115, v34, v71, s1
	v_cndmask_b32_e64 v36, v36, v97, s3
	s_mov_b32 s3, exec_lo
	ds_bpermute_b32 v38, v33, v115
	v_cndmask_b32_e64 v36, v36, v96, s4
	s_delay_alu instid0(VALU_DEP_1) | instskip(NEXT) | instid1(VALU_DEP_1)
	v_cndmask_b32_e32 v34, v36, v95, vcc_lo
	v_dual_cndmask_b32 v35, v35, v91, s1 :: v_dual_cndmask_b32 v34, v34, v94, s1
	ds_bpermute_b32 v36, v33, v35
	ds_bpermute_b32 v37, v33, v34
	s_wait_dscnt 0x1
	v_cmp_lt_f32_e64 s2, v35, v36
	v_cmpx_nlt_f32_e32 v35, v36
	s_cbranch_execz .LBB10_15
; %bb.14:                               ;   in Loop: Header=BB10_13 Depth=1
	v_cmp_eq_f32_e32 vcc_lo, v35, v36
	s_wait_dscnt 0x0
	v_cmp_lt_i32_e64 s1, v37, v34
	s_and_not1_b32 s2, s2, exec_lo
	s_and_b32 s1, vcc_lo, s1
	s_delay_alu instid0(SALU_CYCLE_1) | instskip(NEXT) | instid1(SALU_CYCLE_1)
	s_and_b32 s1, s1, exec_lo
	s_or_b32 s2, s2, s1
.LBB10_15:                              ;   in Loop: Header=BB10_13 Depth=1
	s_or_b32 exec_lo, exec_lo, s3
	s_and_saveexec_b32 s1, s2
	s_cbranch_execz .LBB10_17
; %bb.16:                               ;   in Loop: Header=BB10_13 Depth=1
	v_dual_mov_b32 v35, v36 :: v_dual_mov_b32 v115, v38
	s_wait_dscnt 0x0
	v_mov_b32_e32 v34, v37
.LBB10_17:                              ;   in Loop: Header=BB10_13 Depth=1
	s_or_b32 exec_lo, exec_lo, s1
	ds_bpermute_b32 v38, v111, v35
	s_wait_dscnt 0x1
	ds_bpermute_b32 v37, v111, v115
	ds_bpermute_b32 v36, v111, v34
	s_mov_b32 s3, exec_lo
	s_wait_dscnt 0x2
	v_cmp_lt_f32_e64 s2, v35, v38
	v_cmpx_nlt_f32_e32 v35, v38
	s_cbranch_execz .LBB10_19
; %bb.18:                               ;   in Loop: Header=BB10_13 Depth=1
	v_cmp_eq_f32_e32 vcc_lo, v35, v38
	s_wait_dscnt 0x0
	v_cmp_lt_i32_e64 s1, v36, v34
	s_and_not1_b32 s2, s2, exec_lo
	s_and_b32 s1, vcc_lo, s1
	s_delay_alu instid0(SALU_CYCLE_1) | instskip(NEXT) | instid1(SALU_CYCLE_1)
	s_and_b32 s1, s1, exec_lo
	s_or_b32 s2, s2, s1
.LBB10_19:                              ;   in Loop: Header=BB10_13 Depth=1
	s_or_b32 exec_lo, exec_lo, s3
	s_and_saveexec_b32 s1, s2
	s_cbranch_execz .LBB10_21
; %bb.20:                               ;   in Loop: Header=BB10_13 Depth=1
	s_wait_dscnt 0x1
	v_dual_mov_b32 v35, v38 :: v_dual_mov_b32 v115, v37
	s_wait_dscnt 0x0
	v_mov_b32_e32 v34, v36
.LBB10_21:                              ;   in Loop: Header=BB10_13 Depth=1
	s_or_b32 exec_lo, exec_lo, s1
	ds_bpermute_b32 v38, v112, v35
	s_wait_dscnt 0x2
	ds_bpermute_b32 v37, v112, v115
	s_wait_dscnt 0x2
	ds_bpermute_b32 v36, v112, v34
	s_mov_b32 s3, exec_lo
	s_wait_dscnt 0x2
	v_cmp_lt_f32_e64 s2, v35, v38
	v_cmpx_nlt_f32_e32 v35, v38
	s_cbranch_execz .LBB10_23
; %bb.22:                               ;   in Loop: Header=BB10_13 Depth=1
	v_cmp_eq_f32_e32 vcc_lo, v35, v38
	s_wait_dscnt 0x0
	v_cmp_lt_i32_e64 s1, v36, v34
	s_and_not1_b32 s2, s2, exec_lo
	s_and_b32 s1, vcc_lo, s1
	s_delay_alu instid0(SALU_CYCLE_1) | instskip(NEXT) | instid1(SALU_CYCLE_1)
	s_and_b32 s1, s1, exec_lo
	s_or_b32 s2, s2, s1
.LBB10_23:                              ;   in Loop: Header=BB10_13 Depth=1
	s_or_b32 exec_lo, exec_lo, s3
	s_and_saveexec_b32 s1, s2
	s_cbranch_execz .LBB10_25
; %bb.24:                               ;   in Loop: Header=BB10_13 Depth=1
	s_wait_dscnt 0x1
	v_dual_mov_b32 v35, v38 :: v_dual_mov_b32 v115, v37
	s_wait_dscnt 0x0
	v_mov_b32_e32 v34, v36
.LBB10_25:                              ;   in Loop: Header=BB10_13 Depth=1
	s_or_b32 exec_lo, exec_lo, s1
	ds_bpermute_b32 v38, v113, v35
	s_wait_dscnt 0x2
	ds_bpermute_b32 v37, v113, v115
	s_wait_dscnt 0x2
	;; [unrolled: 30-line block ×3, first 2 shown]
	ds_bpermute_b32 v36, v114, v34
	s_mov_b32 s3, exec_lo
	s_wait_dscnt 0x2
	v_cmp_lt_f32_e64 s2, v35, v38
	v_cmpx_nlt_f32_e32 v35, v38
	s_cbranch_execz .LBB10_31
; %bb.30:                               ;   in Loop: Header=BB10_13 Depth=1
	v_cmp_eq_f32_e32 vcc_lo, v35, v38
	s_wait_dscnt 0x0
	v_cmp_lt_i32_e64 s1, v36, v34
	s_and_not1_b32 s2, s2, exec_lo
	s_and_b32 s1, vcc_lo, s1
	s_delay_alu instid0(SALU_CYCLE_1) | instskip(NEXT) | instid1(SALU_CYCLE_1)
	s_and_b32 s1, s1, exec_lo
	s_or_b32 s2, s2, s1
.LBB10_31:                              ;   in Loop: Header=BB10_13 Depth=1
	s_or_b32 exec_lo, exec_lo, s3
	s_and_saveexec_b32 s1, s2
	s_cbranch_execz .LBB10_33
; %bb.32:                               ;   in Loop: Header=BB10_13 Depth=1
	s_wait_dscnt 0x0
	v_dual_mov_b32 v115, v37 :: v_dual_mov_b32 v34, v36
.LBB10_33:                              ;   in Loop: Header=BB10_13 Depth=1
	s_or_b32 exec_lo, exec_lo, s1
	s_delay_alu instid0(VALU_DEP_1) | instskip(NEXT) | instid1(VALU_DEP_1)
	v_and_b32_e32 v35, 31, v34
	v_cmp_eq_u32_e32 vcc_lo, v35, v93
	s_and_saveexec_b32 s2, vcc_lo
	s_cbranch_execz .LBB10_35
; %bb.34:                               ;   in Loop: Header=BB10_13 Depth=1
	v_ashrrev_i32_e32 v35, 31, v34
	s_delay_alu instid0(VALU_DEP_1) | instskip(NEXT) | instid1(VALU_DEP_1)
	v_lshrrev_b32_e32 v35, 27, v35
	v_add_nc_u32_e32 v35, v34, v35
	s_delay_alu instid0(VALU_DEP_1) | instskip(NEXT) | instid1(VALU_DEP_1)
	v_ashrrev_i32_e32 v35, 5, v35
	v_cmp_ne_u32_e64 s1, 17, v35
	s_delay_alu instid0(VALU_DEP_1) | instskip(SKIP_1) | instid1(VALU_DEP_1)
	v_cndmask_b32_e64 v91, 0xff800000, v91, s1
	v_cmp_ne_u32_e64 s1, 16, v35
	v_cndmask_b32_e64 v90, 0xff800000, v90, s1
	v_cmp_ne_u32_e64 s1, 15, v35
	s_delay_alu instid0(VALU_DEP_1) | instskip(SKIP_1) | instid1(VALU_DEP_1)
	v_cndmask_b32_e64 v89, 0xff800000, v89, s1
	v_cmp_ne_u32_e64 s1, 14, v35
	v_cndmask_b32_e64 v88, 0xff800000, v88, s1
	v_cmp_ne_u32_e64 s1, 13, v35
	s_delay_alu instid0(VALU_DEP_1) | instskip(SKIP_1) | instid1(VALU_DEP_1)
	v_cndmask_b32_e64 v87, 0xff800000, v87, s1
	v_cmp_ne_u32_e64 s1, 12, v35
	v_cndmask_b32_e64 v86, 0xff800000, v86, s1
	v_cmp_ne_u32_e64 s1, 11, v35
	s_delay_alu instid0(VALU_DEP_1) | instskip(SKIP_1) | instid1(VALU_DEP_1)
	v_cndmask_b32_e64 v85, 0xff800000, v85, s1
	v_cmp_ne_u32_e64 s1, 10, v35
	v_cndmask_b32_e64 v84, 0xff800000, v84, s1
	v_cmp_ne_u32_e64 s1, 9, v35
	s_delay_alu instid0(VALU_DEP_1) | instskip(SKIP_1) | instid1(VALU_DEP_1)
	v_cndmask_b32_e64 v83, 0xff800000, v83, s1
	v_cmp_ne_u32_e64 s1, 8, v35
	v_cndmask_b32_e64 v82, 0xff800000, v82, s1
	v_cmp_ne_u32_e64 s1, 7, v35
	s_delay_alu instid0(VALU_DEP_1) | instskip(SKIP_1) | instid1(VALU_DEP_1)
	v_cndmask_b32_e64 v81, 0xff800000, v81, s1
	v_cmp_ne_u32_e64 s1, 6, v35
	v_cndmask_b32_e64 v80, 0xff800000, v80, s1
	v_cmp_ne_u32_e64 s1, 5, v35
	s_delay_alu instid0(VALU_DEP_1) | instskip(SKIP_1) | instid1(VALU_DEP_1)
	v_cndmask_b32_e64 v79, 0xff800000, v79, s1
	v_cmp_ne_u32_e64 s1, 4, v35
	v_cndmask_b32_e64 v78, 0xff800000, v78, s1
	v_cmp_ne_u32_e64 s1, 3, v35
	s_delay_alu instid0(VALU_DEP_1) | instskip(SKIP_1) | instid1(VALU_DEP_1)
	v_cndmask_b32_e64 v77, 0xff800000, v77, s1
	v_cmp_ne_u32_e64 s1, 2, v35
	v_cndmask_b32_e64 v76, 0xff800000, v76, s1
	v_cmp_ne_u32_e64 s1, 1, v35
	s_delay_alu instid0(VALU_DEP_1) | instskip(SKIP_1) | instid1(VALU_DEP_1)
	v_cndmask_b32_e64 v75, 0xff800000, v75, s1
	v_cmp_ne_u32_e64 s1, 0, v35
	v_cndmask_b32_e64 v74, 0xff800000, v74, s1
.LBB10_35:                              ;   in Loop: Header=BB10_13 Depth=1
	s_or_b32 exec_lo, exec_lo, s2
	s_and_saveexec_b32 s1, vcc_lo
	s_cbranch_execz .LBB10_12
; %bb.36:                               ;   in Loop: Header=BB10_13 Depth=1
	v_add_f32_e32 v35, v32, v115
	global_store_b32 v[72:73], v34, off
	v_cndmask_b32_e64 v32, v32, v35, s11
	s_branch .LBB10_12
.LBB10_37:
	s_wait_loadcnt 0x0
	v_mov_b32_e32 v32, 0
	s_delay_alu instid0(VALU_DEP_1)
	v_dual_mov_b32 v33, v32 :: v_dual_mov_b32 v34, v32
	v_dual_mov_b32 v35, v32 :: v_dual_mov_b32 v36, v32
	;; [unrolled: 1-line block ×8, first 2 shown]
	v_mov_b32_e32 v49, v32
	v_mov_b64_e32 v[0:1], v[32:33]
	v_mov_b64_e32 v[2:3], v[34:35]
	v_mov_b64_e32 v[4:5], v[36:37]
	v_mov_b64_e32 v[6:7], v[38:39]
	v_mov_b64_e32 v[8:9], v[40:41]
	v_mov_b64_e32 v[10:11], v[42:43]
	v_mov_b64_e32 v[12:13], v[44:45]
	v_mov_b64_e32 v[14:15], v[46:47]
	v_mov_b64_e32 v[16:17], v[48:49]
	v_mov_b64_e32 v[18:19], v[50:51]
	v_mov_b64_e32 v[20:21], v[52:53]
	v_mov_b64_e32 v[22:23], v[54:55]
	v_mov_b64_e32 v[24:25], v[56:57]
	v_mov_b64_e32 v[26:27], v[58:59]
	v_mov_b64_e32 v[28:29], v[60:61]
	v_mov_b64_e32 v[30:31], v[62:63]
.LBB10_38:
	s_and_b32 vcc_lo, exec_lo, s11
	s_cbranch_vccz .LBB10_40
; %bb.39:
	v_xor_b32_e32 v20, 4, v67
	v_xor_b32_e32 v18, 16, v67
	;; [unrolled: 1-line block ×3, first 2 shown]
	s_delay_alu instid0(VALU_DEP_2) | instskip(SKIP_1) | instid1(VALU_DEP_3)
	v_cmp_gt_i32_e32 vcc_lo, 32, v18
	v_cndmask_b32_e32 v18, v67, v18, vcc_lo
	v_cmp_gt_i32_e32 vcc_lo, 32, v19
	s_delay_alu instid0(VALU_DEP_2)
	v_dual_cndmask_b32 v19, v67, v19 :: v_dual_lshlrev_b32 v18, 2, v18
	v_cmp_gt_i32_e32 vcc_lo, 32, v20
	ds_bpermute_b32 v18, v18, v32
	v_dual_cndmask_b32 v20, v67, v20 :: v_dual_lshlrev_b32 v19, 2, v19
	s_wait_dscnt 0x0
	v_add_f32_e32 v18, v32, v18
	ds_bpermute_b32 v19, v19, v18
	s_wait_dscnt 0x0
	v_dual_lshlrev_b32 v20, 2, v20 :: v_dual_add_f32 v18, v18, v19
	ds_bpermute_b32 v19, v20, v18
	v_xor_b32_e32 v20, 2, v67
	s_delay_alu instid0(VALU_DEP_1) | instskip(SKIP_2) | instid1(VALU_DEP_1)
	v_cmp_gt_i32_e32 vcc_lo, 32, v20
	s_wait_dscnt 0x0
	v_dual_cndmask_b32 v20, v67, v20, vcc_lo :: v_dual_add_f32 v18, v18, v19
	v_lshlrev_b32_e32 v20, 2, v20
	ds_bpermute_b32 v19, v20, v18
	v_xor_b32_e32 v20, 1, v67
	s_delay_alu instid0(VALU_DEP_1) | instskip(SKIP_2) | instid1(VALU_DEP_1)
	v_cmp_gt_i32_e32 vcc_lo, 32, v20
	s_wait_dscnt 0x0
	v_dual_add_f32 v18, v18, v19 :: v_dual_cndmask_b32 v20, v67, v20, vcc_lo
	v_lshlrev_b32_e32 v20, 2, v20
	ds_bpermute_b32 v19, v20, v18
	v_max_num_f32_e64 v20, s30, s30
	s_wait_dscnt 0x0
	v_add_f32_e32 v18, v18, v19
	s_delay_alu instid0(VALU_DEP_1) | instskip(NEXT) | instid1(VALU_DEP_1)
	v_max_num_f32_e32 v18, v18, v20
	v_div_scale_f32 v19, null, v18, v18, 1.0
	s_delay_alu instid0(VALU_DEP_1) | instskip(SKIP_1) | instid1(TRANS32_DEP_1)
	v_rcp_f32_e32 v20, v19
	v_nop
	v_fma_f32 v21, -v19, v20, 1.0
	s_delay_alu instid0(VALU_DEP_1) | instskip(SKIP_1) | instid1(VALU_DEP_1)
	v_fmac_f32_e32 v20, v21, v20
	v_div_scale_f32 v22, vcc_lo, 1.0, v18, 1.0
	v_mul_f32_e32 v21, v22, v20
	s_delay_alu instid0(VALU_DEP_1) | instskip(NEXT) | instid1(VALU_DEP_1)
	v_fma_f32 v23, -v19, v21, v22
	v_fmac_f32_e32 v21, v23, v20
	s_delay_alu instid0(VALU_DEP_1) | instskip(NEXT) | instid1(VALU_DEP_1)
	v_fma_f32 v19, -v19, v21, v22
	v_div_fmas_f32 v19, v19, v20, v21
	s_delay_alu instid0(VALU_DEP_1) | instskip(NEXT) | instid1(VALU_DEP_1)
	v_div_fixup_f32 v18, v19, v18, 1.0
	v_pk_mul_f32 v[16:17], v[18:19], v[16:17] op_sel_hi:[0,1]
	v_pk_mul_f32 v[14:15], v[18:19], v[14:15] op_sel_hi:[0,1]
	;; [unrolled: 1-line block ×9, first 2 shown]
.LBB10_40:
	v_cmp_gt_i32_e64 s1, s29, v110
	v_cmp_gt_i32_e64 s2, s29, v109
	;; [unrolled: 1-line block ×18, first 2 shown]
	s_and_not1_b32 vcc_lo, exec_lo, s0
	s_cbranch_vccnz .LBB10_42
; %bb.41:
	v_dual_max_num_f32 v18, v0, v0 :: v_dual_max_num_f32 v19, v1, v1
	v_dual_max_num_f32 v20, v2, v2 :: v_dual_bitop2_b32 v24, 1, v67 bitop3:0x14
	v_xor_b32_e32 v22, 4, v67
	s_delay_alu instid0(VALU_DEP_3) | instskip(NEXT) | instid1(VALU_DEP_1)
	v_max_num_f32_e32 v18, 0xff800000, v18
	v_cndmask_b32_e64 v18, 0xff800000, v18, s18
	s_delay_alu instid0(VALU_DEP_1) | instskip(NEXT) | instid1(VALU_DEP_1)
	v_max_num_f32_e32 v19, v18, v19
	v_cndmask_b32_e64 v18, v18, v19, s1
	s_delay_alu instid0(VALU_DEP_1) | instskip(NEXT) | instid1(VALU_DEP_1)
	v_dual_max_num_f32 v19, v18, v20 :: v_dual_max_num_f32 v20, v3, v3
	v_cndmask_b32_e64 v18, v18, v19, s2
	s_delay_alu instid0(VALU_DEP_1) | instskip(NEXT) | instid1(VALU_DEP_1)
	v_max_num_f32_e32 v19, v18, v20
	v_dual_max_num_f32 v20, v4, v4 :: v_dual_cndmask_b32 v18, v18, v19, s3
	s_delay_alu instid0(VALU_DEP_1) | instskip(NEXT) | instid1(VALU_DEP_1)
	v_max_num_f32_e32 v19, v18, v20
	v_dual_cndmask_b32 v18, v18, v19, s4 :: v_dual_max_num_f32 v19, v5, v5
	s_delay_alu instid0(VALU_DEP_1) | instskip(NEXT) | instid1(VALU_DEP_1)
	v_max_num_f32_e32 v20, v18, v18
	v_max_num_f32_e32 v19, v20, v19
	s_delay_alu instid0(VALU_DEP_1) | instskip(SKIP_1) | instid1(VALU_DEP_2)
	v_cndmask_b32_e64 v18, v18, v19, s5
	v_max_num_f32_e32 v19, v6, v6
	v_max_num_f32_e32 v20, v18, v18
	s_delay_alu instid0(VALU_DEP_1) | instskip(NEXT) | instid1(VALU_DEP_1)
	v_max_num_f32_e32 v19, v20, v19
	v_cndmask_b32_e64 v18, v18, v19, s6
	s_delay_alu instid0(VALU_DEP_1) | instskip(NEXT) | instid1(VALU_DEP_1)
	v_dual_max_num_f32 v19, v7, v7 :: v_dual_max_num_f32 v20, v18, v18
	v_max_num_f32_e32 v19, v20, v19
	s_delay_alu instid0(VALU_DEP_1) | instskip(NEXT) | instid1(VALU_DEP_1)
	v_dual_cndmask_b32 v18, v18, v19, s7 :: v_dual_max_num_f32 v19, v8, v8
	v_max_num_f32_e32 v20, v18, v18
	s_delay_alu instid0(VALU_DEP_1) | instskip(NEXT) | instid1(VALU_DEP_1)
	v_max_num_f32_e32 v19, v20, v19
	v_dual_cndmask_b32 v18, v18, v19, s8 :: v_dual_max_num_f32 v19, v9, v9
	s_delay_alu instid0(VALU_DEP_1) | instskip(NEXT) | instid1(VALU_DEP_1)
	v_max_num_f32_e32 v20, v18, v18
	v_max_num_f32_e32 v19, v20, v19
	s_delay_alu instid0(VALU_DEP_1) | instskip(SKIP_1) | instid1(VALU_DEP_2)
	v_cndmask_b32_e64 v18, v18, v19, s9
	v_max_num_f32_e32 v19, v10, v10
	v_max_num_f32_e32 v20, v18, v18
	s_delay_alu instid0(VALU_DEP_1) | instskip(NEXT) | instid1(VALU_DEP_1)
	v_max_num_f32_e32 v19, v20, v19
	v_cndmask_b32_e64 v18, v18, v19, s10
	s_delay_alu instid0(VALU_DEP_1) | instskip(NEXT) | instid1(VALU_DEP_1)
	v_dual_max_num_f32 v19, v11, v11 :: v_dual_max_num_f32 v20, v18, v18
	v_max_num_f32_e32 v19, v20, v19
	s_delay_alu instid0(VALU_DEP_1) | instskip(NEXT) | instid1(VALU_DEP_1)
	v_dual_cndmask_b32 v18, v18, v19, s11 :: v_dual_max_num_f32 v19, v12, v12
	v_max_num_f32_e32 v20, v18, v18
	;; [unrolled: 19-line block ×3, first 2 shown]
	s_delay_alu instid0(VALU_DEP_1) | instskip(NEXT) | instid1(VALU_DEP_1)
	v_dual_max_num_f32 v19, v20, v19 :: v_dual_max_num_f32 v20, v17, v17
	v_cndmask_b32_e64 v18, v18, v19, s16
	s_delay_alu instid0(VALU_DEP_1) | instskip(NEXT) | instid1(VALU_DEP_1)
	v_max_num_f32_e32 v21, v18, v18
	v_dual_max_num_f32 v20, v21, v20 :: v_dual_bitop2_b32 v19, 16, v67 bitop3:0x14
	s_delay_alu instid0(VALU_DEP_1) | instskip(NEXT) | instid1(VALU_DEP_2)
	v_dual_cndmask_b32 v18, v18, v20, s17 :: v_dual_bitop2_b32 v21, 8, v67 bitop3:0x14
	v_cmp_gt_i32_e32 vcc_lo, 32, v19
	v_cndmask_b32_e32 v19, v67, v19, vcc_lo
	s_delay_alu instid0(VALU_DEP_3) | instskip(NEXT) | instid1(VALU_DEP_2)
	v_cmp_gt_i32_e32 vcc_lo, 32, v21
	v_dual_cndmask_b32 v21, v67, v21, vcc_lo :: v_dual_lshlrev_b32 v19, 2, v19
	v_cmp_gt_i32_e32 vcc_lo, 32, v22
	s_delay_alu instid0(VALU_DEP_2) | instskip(SKIP_3) | instid1(VALU_DEP_1)
	v_lshlrev_b32_e32 v21, 2, v21
	ds_bpermute_b32 v20, v19, v18
	s_wait_dscnt 0x0
	v_dual_max_num_f32 v18, v18, v18 :: v_dual_max_num_f32 v20, v20, v20
	v_max_num_f32_e32 v18, v18, v20
	ds_bpermute_b32 v20, v21, v18
	s_wait_dscnt 0x0
	v_dual_cndmask_b32 v22, v67, v22, vcc_lo :: v_dual_max_num_f32 v20, v20, v20
	s_delay_alu instid0(VALU_DEP_1) | instskip(SKIP_3) | instid1(VALU_DEP_1)
	v_dual_lshlrev_b32 v22, 2, v22 :: v_dual_max_num_f32 v18, v18, v20
	ds_bpermute_b32 v20, v22, v18
	s_wait_dscnt 0x0
	v_dual_max_num_f32 v20, v20, v20 :: v_dual_bitop2_b32 v23, 2, v67 bitop3:0x14
	v_cmp_gt_i32_e32 vcc_lo, 32, v23
	s_delay_alu instid0(VALU_DEP_2) | instskip(SKIP_1) | instid1(VALU_DEP_2)
	v_dual_max_num_f32 v18, v18, v20 :: v_dual_cndmask_b32 v23, v67, v23
	v_cmp_gt_i32_e32 vcc_lo, 32, v24
	v_dual_cndmask_b32 v24, v67, v24 :: v_dual_lshlrev_b32 v23, 2, v23
	ds_bpermute_b32 v20, v23, v18
	v_lshlrev_b32_e32 v24, 2, v24
	s_wait_dscnt 0x0
	v_max_num_f32_e32 v20, v20, v20
	s_delay_alu instid0(VALU_DEP_1) | instskip(SKIP_3) | instid1(VALU_DEP_1)
	v_max_num_f32_e32 v18, v18, v20
	ds_bpermute_b32 v20, v24, v18
	s_wait_dscnt 0x0
	v_max_num_f32_e32 v20, v20, v20
	v_max_num_f32_e32 v18, v18, v20
	s_delay_alu instid0(VALU_DEP_1) | instskip(NEXT) | instid1(VALU_DEP_1)
	v_sub_f32_e32 v2, v2, v18
	v_mul_f32_e32 v25, 0x3fb8aa3b, v2
	v_dual_sub_f32 v0, v0, v18 :: v_dual_sub_f32 v1, v1, v18
	v_dual_sub_f32 v3, v3, v18 :: v_dual_sub_f32 v4, v4, v18
	v_dual_sub_f32 v5, v5, v18 :: v_dual_sub_f32 v6, v6, v18
	v_dual_sub_f32 v7, v7, v18 :: v_dual_sub_f32 v8, v8, v18
	v_dual_sub_f32 v9, v9, v18 :: v_dual_sub_f32 v10, v10, v18
	v_dual_sub_f32 v11, v11, v18 :: v_dual_sub_f32 v12, v12, v18
	v_dual_sub_f32 v13, v13, v18 :: v_dual_sub_f32 v14, v14, v18
	v_dual_sub_f32 v15, v15, v18 :: v_dual_sub_f32 v16, v16, v18
	v_dual_sub_f32 v17, v17, v18 :: v_dual_mul_f32 v18, 0x3fb8aa3b, v0
	v_dual_mul_f32 v20, 0x3fb8aa3b, v1 :: v_dual_mul_f32 v27, 0x3fb8aa3b, v4
	v_dual_mul_f32 v26, 0x3fb8aa3b, v3 :: v_dual_mul_f32 v29, 0x3fb8aa3b, v6
	s_delay_alu instid0(VALU_DEP_3) | instskip(SKIP_1) | instid1(VALU_DEP_4)
	v_fma_f32 v41, 0x3fb8aa3b, v0, -v18
	v_rndne_f32_e32 v42, v18
	v_fma_f32 v43, 0x3fb8aa3b, v1, -v20
	v_rndne_f32_e32 v44, v20
	v_fma_f32 v49, 0x3fb8aa3b, v4, -v27
	s_delay_alu instid0(VALU_DEP_4) | instskip(SKIP_1) | instid1(VALU_DEP_4)
	v_dual_fmac_f32 v41, 0x32a5705f, v0 :: v_dual_sub_f32 v18, v18, v42
	v_rndne_f32_e32 v54, v29
	v_dual_fmac_f32 v43, 0x32a5705f, v1 :: v_dual_sub_f32 v20, v20, v44
	s_delay_alu instid0(VALU_DEP_3) | instskip(SKIP_1) | instid1(VALU_DEP_3)
	v_dual_fmac_f32 v49, 0x32a5705f, v4 :: v_dual_add_f32 v18, v18, v41
	v_fma_f32 v53, 0x3fb8aa3b, v6, -v29
	v_dual_sub_f32 v29, v29, v54 :: v_dual_add_f32 v20, v20, v43
	v_dual_mul_f32 v28, 0x3fb8aa3b, v5 :: v_dual_mul_f32 v31, 0x3fb8aa3b, v8
	s_delay_alu instid0(VALU_DEP_4)
	v_exp_f32_e32 v18, v18
	v_cvt_i32_f32_e32 v42, v42
	v_fma_f32 v45, 0x3fb8aa3b, v2, -v25
	v_rndne_f32_e32 v46, v25
	v_exp_f32_e32 v20, v20
	v_dual_mul_f32 v30, 0x3fb8aa3b, v7 :: v_dual_mul_f32 v33, 0x3fb8aa3b, v10
	v_fma_f32 v57, 0x3fb8aa3b, v8, -v31
	v_cvt_i32_f32_e32 v44, v44
	v_ldexp_f32 v18, v18, v42
	v_cmp_ngt_f32_e32 vcc_lo, 0xc2ce8ed0, v0
	v_dual_mul_f32 v38, 0x3fb8aa3b, v15 :: v_dual_sub_f32 v25, v25, v46
	v_rndne_f32_e32 v48, v26
	v_rndne_f32_e32 v58, v31
	v_fmac_f32_e32 v45, 0x32a5705f, v2
	v_fma_f32 v61, 0x3fb8aa3b, v10, -v33
	v_dual_fmac_f32 v57, 0x32a5705f, v8 :: v_dual_cndmask_b32 v18, 0, v18
	v_ldexp_f32 v20, v20, v44
	v_cmp_ngt_f32_e32 vcc_lo, 0xc2ce8ed0, v1
	v_dual_mul_f32 v32, 0x3fb8aa3b, v9 :: v_dual_mul_f32 v35, 0x3fb8aa3b, v12
	v_fma_f32 v47, 0x3fb8aa3b, v3, -v26
	v_dual_sub_f32 v26, v26, v48 :: v_dual_sub_f32 v31, v31, v58
	v_add_f32_e32 v25, v25, v45
	v_dual_mul_f32 v36, 0x3fb8aa3b, v13 :: v_dual_mul_f32 v39, 0x3fb8aa3b, v16
	v_dual_fmac_f32 v61, 0x32a5705f, v10 :: v_dual_cndmask_b32 v20, 0, v20
	v_cmp_nlt_f32_e32 vcc_lo, 0x42b17218, v0
	v_rndne_f32_e32 v52, v28
	v_fma_f32 v59, 0x3fb8aa3b, v9, -v32
	v_fmac_f32_e32 v47, 0x32a5705f, v3
	v_exp_f32_e32 v25, v25
	v_dual_mul_f32 v34, 0x3fb8aa3b, v11 :: v_dual_mul_f32 v37, 0x3fb8aa3b, v14
	v_rndne_f32_e32 v50, v27
	v_fma_f32 v51, 0x3fb8aa3b, v5, -v28
	v_rndne_f32_e32 v56, v30
	v_rndne_f32_e32 v69, v36
	v_cvt_i32_f32_e32 v46, v46
	v_cndmask_b32_e32 v0, 0x7f800000, v18, vcc_lo
	v_cmp_nlt_f32_e32 vcc_lo, 0x42b17218, v1
	v_dual_sub_f32 v28, v28, v52 :: v_dual_fmac_f32 v59, 0x32a5705f, v9
	v_add_f32_e32 v26, v26, v47
	v_dual_mul_f32 v40, 0x3fb8aa3b, v17 :: v_dual_sub_f32 v27, v27, v50
	v_fma_f32 v55, 0x3fb8aa3b, v7, -v30
	v_fma_f32 v63, 0x3fb8aa3b, v11, -v34
	v_dual_fmac_f32 v51, 0x32a5705f, v5 :: v_dual_sub_f32 v30, v30, v56
	v_ldexp_f32 v25, v25, v46
	v_cndmask_b32_e32 v1, 0x7f800000, v20, vcc_lo
	v_cmp_ngt_f32_e32 vcc_lo, 0xc2ce8ed0, v2
	v_exp_f32_e32 v18, v26
	v_cvt_i32_f32_e32 v48, v48
	v_dual_fmac_f32 v63, 0x32a5705f, v11 :: v_dual_add_f32 v20, v27, v49
	v_cndmask_b32_e32 v25, 0, v25, vcc_lo
	v_cmp_nlt_f32_e32 vcc_lo, 0x42b17218, v2
	v_dual_sub_f32 v27, v36, v69 :: v_dual_cndmask_b32 v0, 0, v0, s18
	s_delay_alu instid0(TRANS32_DEP_1)
	v_ldexp_f32 v18, v18, v48
	v_exp_f32_e32 v20, v20
	v_cndmask_b32_e32 v2, 0x7f800000, v25, vcc_lo
	v_cmp_ngt_f32_e32 vcc_lo, 0xc2ce8ed0, v3
	v_rndne_f32_e32 v64, v34
	v_cvt_i32_f32_e32 v50, v50
	v_dual_add_f32 v26, v1, v0 :: v_dual_fmac_f32 v55, 0x32a5705f, v7
	v_cndmask_b32_e32 v18, 0, v18, vcc_lo
	v_cmp_nlt_f32_e32 vcc_lo, 0x42b17218, v3
	v_sub_f32_e32 v34, v34, v64
	v_ldexp_f32 v20, v20, v50
	v_cvt_i32_f32_e32 v52, v52
	v_rndne_f32_e32 v60, v32
	v_cndmask_b32_e32 v3, 0x7f800000, v18, vcc_lo
	v_cmp_ngt_f32_e32 vcc_lo, 0xc2ce8ed0, v4
	v_cndmask_b32_e64 v25, v0, v26, s1
	v_dual_add_f32 v26, v28, v51 :: v_dual_fmac_f32 v53, 0x32a5705f, v6
	v_sub_f32_e32 v32, v32, v60
	s_delay_alu instid0(VALU_DEP_3) | instskip(NEXT) | instid1(VALU_DEP_3)
	v_dual_cndmask_b32 v20, 0, v20, vcc_lo :: v_dual_add_f32 v28, v25, v2
	v_exp_f32_e32 v26, v26
	v_cmp_nlt_f32_e32 vcc_lo, 0x42b17218, v4
	v_rndne_f32_e32 v71, v37
	v_fma_f32 v70, 0x3fb8aa3b, v14, -v37
	v_rndne_f32_e32 v62, v33
	v_rndne_f32_e32 v67, v35
	v_cndmask_b32_e32 v4, 0x7f800000, v20, vcc_lo
	v_ldexp_f32 v26, v26, v52
	v_cmp_ngt_f32_e32 vcc_lo, 0xc2ce8ed0, v5
	v_cndmask_b32_e64 v18, v25, v28, s2
	v_dual_add_f32 v25, v29, v53 :: v_dual_fmac_f32 v70, 0x32a5705f, v14
	s_delay_alu instid0(VALU_DEP_4) | instskip(NEXT) | instid1(VALU_DEP_3)
	v_dual_add_f32 v20, v30, v55 :: v_dual_cndmask_b32 v26, 0, v26, vcc_lo
	v_add_f32_e32 v29, v18, v3
	s_delay_alu instid0(VALU_DEP_3)
	v_exp_f32_e32 v25, v25
	v_cvt_i32_f32_e32 v54, v54
	v_cmp_nlt_f32_e32 vcc_lo, 0x42b17218, v5
	v_fma_f32 v65, 0x3fb8aa3b, v12, -v35
	v_dual_cndmask_b32 v18, v18, v29, s3 :: v_dual_sub_f32 v33, v33, v62
	v_sub_f32_e32 v35, v35, v67
	s_delay_alu instid0(TRANS32_DEP_1) | instskip(SKIP_1) | instid1(VALU_DEP_4)
	v_ldexp_f32 v25, v25, v54
	v_cndmask_b32_e32 v5, 0x7f800000, v26, vcc_lo
	v_dual_add_f32 v29, v18, v4 :: v_dual_add_f32 v26, v31, v57
	v_cmp_ngt_f32_e32 vcc_lo, 0xc2ce8ed0, v6
	v_exp_f32_e32 v20, v20
	v_cvt_i32_f32_e32 v56, v56
	s_delay_alu instid0(VALU_DEP_3)
	v_cndmask_b32_e64 v18, v18, v29, s4
	v_exp_f32_e32 v26, v26
	v_cndmask_b32_e32 v25, 0, v25, vcc_lo
	v_cmp_nlt_f32_e32 vcc_lo, 0x42b17218, v6
	v_cvt_i32_f32_e32 v58, v58
	v_ldexp_f32 v20, v20, v56
	v_fma_f32 v68, 0x3fb8aa3b, v13, -v36
	v_cvt_i32_f32_e32 v60, v60
	v_cndmask_b32_e32 v6, 0x7f800000, v25, vcc_lo
	v_cmp_ngt_f32_e32 vcc_lo, 0xc2ce8ed0, v7
	v_add_f32_e32 v25, v32, v59
	v_ldexp_f32 v26, v26, v58
	v_dual_fmac_f32 v65, 0x32a5705f, v12 :: v_dual_fmac_f32 v68, 0x32a5705f, v13
	v_cndmask_b32_e32 v20, 0, v20, vcc_lo
	v_cmp_nlt_f32_e32 vcc_lo, 0x42b17218, v7
	v_exp_f32_e32 v25, v25
	v_cvt_i32_f32_e32 v41, v62
	v_cvt_i32_f32_e32 v43, v64
	v_rndne_f32_e32 v75, v39
	v_dual_cndmask_b32 v7, 0x7f800000, v20 :: v_dual_add_f32 v20, v33, v61
	v_add_f32_e32 v30, v18, v5
	v_cmp_ngt_f32_e32 vcc_lo, 0xc2ce8ed0, v8
	v_ldexp_f32 v25, v25, v60
	v_fma_f32 v74, 0x3fb8aa3b, v16, -v39
	v_exp_f32_e32 v20, v20
	v_dual_cndmask_b32 v18, v18, v30, s5 :: v_dual_sub_f32 v29, v37, v71
	v_cvt_i32_f32_e32 v42, v67
	v_fma_f32 v72, 0x3fb8aa3b, v15, -v38
	v_rndne_f32_e32 v73, v38
	s_delay_alu instid0(VALU_DEP_4) | instskip(NEXT) | instid1(TRANS32_DEP_1)
	v_add_f32_e32 v31, v18, v6
	v_ldexp_f32 v20, v20, v41
	v_cvt_i32_f32_e32 v28, v69
	v_fmac_f32_e32 v72, 0x32a5705f, v15
	v_rndne_f32_e32 v77, v40
	v_dual_cndmask_b32 v18, v18, v31, s6 :: v_dual_cndmask_b32 v26, 0, v26, vcc_lo
	v_cmp_nlt_f32_e32 vcc_lo, 0x42b17218, v8
	v_cvt_i32_f32_e32 v30, v71
	v_fma_f32 v76, 0x3fb8aa3b, v17, -v40
	v_dual_cndmask_b32 v3, 0, v3, s3 :: v_dual_cndmask_b32 v4, 0, v4, s4
	v_cndmask_b32_e32 v8, 0x7f800000, v26, vcc_lo
	v_add_f32_e32 v26, v34, v63
	v_add_f32_e32 v31, v18, v7
	v_cmp_ngt_f32_e32 vcc_lo, 0xc2ce8ed0, v9
	v_dual_cndmask_b32 v5, 0, v5, s5 :: v_dual_cndmask_b32 v6, 0, v6, s6
	s_delay_alu instid0(VALU_DEP_4) | instskip(NEXT) | instid1(VALU_DEP_3)
	v_exp_f32_e32 v26, v26
	v_dual_cndmask_b32 v18, v18, v31, s7 :: v_dual_cndmask_b32 v25, 0, v25, vcc_lo
	v_cmp_nlt_f32_e32 vcc_lo, 0x42b17218, v9
	v_sub_f32_e32 v31, v38, v73
	v_dual_cndmask_b32 v1, 0, v1, s1 :: v_dual_cndmask_b32 v2, 0, v2, s2
	s_delay_alu instid0(TRANS32_DEP_1)
	v_ldexp_f32 v26, v26, v43
	v_cndmask_b32_e32 v9, 0x7f800000, v25, vcc_lo
	v_cmp_ngt_f32_e32 vcc_lo, 0xc2ce8ed0, v10
	v_dual_add_f32 v25, v35, v65 :: v_dual_add_f32 v32, v18, v8
	v_cndmask_b32_e32 v20, 0, v20, vcc_lo
	v_cmp_nlt_f32_e32 vcc_lo, 0x42b17218, v10
	s_delay_alu instid0(VALU_DEP_3) | instskip(NEXT) | instid1(VALU_DEP_2)
	v_exp_f32_e32 v25, v25
	v_cndmask_b32_e32 v10, 0x7f800000, v20, vcc_lo
	v_cmp_ngt_f32_e32 vcc_lo, 0xc2ce8ed0, v11
	v_cndmask_b32_e64 v18, v18, v32, s8
	v_add_f32_e32 v20, v27, v68
	s_delay_alu instid0(TRANS32_DEP_1) | instskip(SKIP_1) | instid1(VALU_DEP_4)
	v_ldexp_f32 v25, v25, v42
	v_cvt_i32_f32_e32 v32, v73
	v_dual_cndmask_b32 v26, 0, v26 :: v_dual_add_f32 v33, v18, v9
	v_cmp_nlt_f32_e32 vcc_lo, 0x42b17218, v11
	v_exp_f32_e32 v20, v20
	v_dual_cndmask_b32 v8, 0, v8, s8 :: v_dual_cndmask_b32 v9, 0, v9, s9
	s_delay_alu instid0(VALU_DEP_3)
	v_cndmask_b32_e64 v18, v18, v33, s9
	v_cndmask_b32_e32 v11, 0x7f800000, v26, vcc_lo
	v_add_f32_e32 v26, v29, v70
	v_fmac_f32_e32 v74, 0x32a5705f, v16
	v_cmp_ngt_f32_e32 vcc_lo, 0xc2ce8ed0, v12
	v_add_f32_e32 v27, v18, v10
	v_ldexp_f32 v20, v20, v28
	v_exp_f32_e32 v26, v26
	s_delay_alu instid0(VALU_DEP_2) | instskip(SKIP_2) | instid1(TRANS32_DEP_1)
	v_dual_cndmask_b32 v25, 0, v25, vcc_lo :: v_dual_cndmask_b32 v18, v18, v27, s10
	v_cmp_nlt_f32_e32 vcc_lo, 0x42b17218, v12
	v_sub_f32_e32 v27, v39, v75
	v_ldexp_f32 v26, v26, v30
	s_delay_alu instid0(VALU_DEP_4) | instskip(SKIP_1) | instid1(VALU_DEP_2)
	v_dual_add_f32 v29, v18, v11 :: v_dual_cndmask_b32 v12, 0x7f800000, v25
	v_cmp_ngt_f32_e32 vcc_lo, 0xc2ce8ed0, v13
	v_dual_add_f32 v25, v31, v72 :: v_dual_cndmask_b32 v18, v18, v29, s11
	v_cndmask_b32_e32 v20, 0, v20, vcc_lo
	v_cmp_nlt_f32_e32 vcc_lo, 0x42b17218, v13
	s_delay_alu instid0(VALU_DEP_3) | instskip(NEXT) | instid1(VALU_DEP_3)
	v_exp_f32_e32 v25, v25
	v_dual_add_f32 v28, v18, v12 :: v_dual_cndmask_b32 v10, 0, v10, s10
	v_cndmask_b32_e64 v11, 0, v11, s11
	v_dual_cndmask_b32 v13, 0x7f800000, v20 :: v_dual_add_f32 v20, v27, v74
	v_cmp_ngt_f32_e32 vcc_lo, 0xc2ce8ed0, v14
	s_delay_alu instid0(VALU_DEP_4) | instskip(NEXT) | instid1(TRANS32_DEP_1)
	v_dual_cndmask_b32 v18, v18, v28, s12 :: v_dual_sub_f32 v27, v40, v77
	v_ldexp_f32 v25, v25, v32
	s_delay_alu instid0(VALU_DEP_4) | instskip(NEXT) | instid1(VALU_DEP_2)
	v_exp_f32_e32 v20, v20
	v_dual_cndmask_b32 v26, 0, v26, vcc_lo :: v_dual_add_f32 v28, v18, v13
	v_cmp_nlt_f32_e32 vcc_lo, 0x42b17218, v14
	v_dual_cndmask_b32 v12, 0, v12, s12 :: v_dual_cndmask_b32 v13, 0, v13, s13
	s_delay_alu instid0(VALU_DEP_3) | instskip(SKIP_3) | instid1(VALU_DEP_2)
	v_cndmask_b32_e32 v14, 0x7f800000, v26, vcc_lo
	v_cmp_ngt_f32_e32 vcc_lo, 0xc2ce8ed0, v15
	v_dual_cndmask_b32 v18, v18, v28, s13 :: v_dual_cndmask_b32 v25, 0, v25, vcc_lo
	v_cmp_nlt_f32_e32 vcc_lo, 0x42b17218, v15
	v_dual_add_f32 v28, v18, v14 :: v_dual_cndmask_b32 v15, 0x7f800000, v25
	s_delay_alu instid0(VALU_DEP_1) | instskip(SKIP_3) | instid1(VALU_DEP_3)
	v_cndmask_b32_e64 v18, v18, v28, s14
	v_fmac_f32_e32 v76, 0x32a5705f, v17
	v_cmp_ngt_f32_e32 vcc_lo, 0xc2ce8ed0, v16
	v_cvt_i32_f32_e32 v25, v77
	v_add_f32_e32 v26, v27, v76
	v_cvt_i32_f32_e32 v27, v75
	s_delay_alu instid0(VALU_DEP_2) | instskip(NEXT) | instid1(VALU_DEP_1)
	v_exp_f32_e32 v26, v26
	v_ldexp_f32 v20, v20, v27
	s_delay_alu instid0(VALU_DEP_1) | instskip(SKIP_1) | instid1(TRANS32_DEP_1)
	v_cndmask_b32_e32 v20, 0, v20, vcc_lo
	v_cmp_nlt_f32_e32 vcc_lo, 0x42b17218, v16
	v_ldexp_f32 v25, v26, v25
	s_delay_alu instid0(VALU_DEP_3) | instskip(SKIP_1) | instid1(VALU_DEP_3)
	v_cndmask_b32_e32 v16, 0x7f800000, v20, vcc_lo
	v_cmp_ngt_f32_e32 vcc_lo, 0xc2ce8ed0, v17
	v_dual_cndmask_b32 v20, 0, v25 :: v_dual_add_f32 v27, v18, v15
	v_cmp_nlt_f32_e32 vcc_lo, 0x42b17218, v17
	v_cndmask_b32_e64 v15, 0, v15, s15
	s_delay_alu instid0(VALU_DEP_3) | instskip(NEXT) | instid1(VALU_DEP_4)
	v_cndmask_b32_e64 v18, v18, v27, s15
	v_cndmask_b32_e32 v17, 0x7f800000, v20, vcc_lo
	s_delay_alu instid0(VALU_DEP_2) | instskip(NEXT) | instid1(VALU_DEP_1)
	v_dual_add_f32 v25, v18, v16 :: v_dual_cndmask_b32 v14, 0, v14, s14
	v_cndmask_b32_e64 v18, v18, v25, s16
	s_delay_alu instid0(VALU_DEP_1) | instskip(NEXT) | instid1(VALU_DEP_1)
	v_add_f32_e32 v20, v18, v17
	v_cndmask_b32_e64 v18, v18, v20, s17
	ds_bpermute_b32 v19, v19, v18
	s_wait_dscnt 0x0
	v_dual_add_f32 v18, v18, v19 :: v_dual_cndmask_b32 v17, 0, v17, s17
	ds_bpermute_b32 v19, v21, v18
	s_wait_dscnt 0x0
	v_add_f32_e32 v18, v18, v19
	ds_bpermute_b32 v19, v22, v18
	s_wait_dscnt 0x0
	v_add_f32_e32 v18, v18, v19
	;; [unrolled: 3-line block ×4, first 2 shown]
	s_delay_alu instid0(VALU_DEP_1) | instskip(SKIP_1) | instid1(VALU_DEP_2)
	v_div_scale_f32 v19, null, v18, v18, 1.0
	v_div_scale_f32 v22, vcc_lo, 1.0, v18, 1.0
	v_rcp_f32_e32 v20, v19
	v_nop
	s_delay_alu instid0(TRANS32_DEP_1) | instskip(NEXT) | instid1(VALU_DEP_1)
	v_fma_f32 v21, -v19, v20, 1.0
	v_fmac_f32_e32 v20, v21, v20
	s_delay_alu instid0(VALU_DEP_1) | instskip(NEXT) | instid1(VALU_DEP_1)
	v_mul_f32_e32 v21, v22, v20
	v_dual_cndmask_b32 v16, 0, v16, s16 :: v_dual_fma_f32 v23, -v19, v21, v22
	s_delay_alu instid0(VALU_DEP_1) | instskip(NEXT) | instid1(VALU_DEP_1)
	v_dual_fmac_f32 v21, v23, v20 :: v_dual_cndmask_b32 v7, 0, v7, s7
	v_fma_f32 v19, -v19, v21, v22
	s_delay_alu instid0(VALU_DEP_1) | instskip(NEXT) | instid1(VALU_DEP_1)
	v_div_fmas_f32 v19, v19, v20, v21
	v_div_fixup_f32 v18, v19, v18, 1.0
	s_delay_alu instid0(VALU_DEP_1)
	v_dual_mul_f32 v19, v0, v18 :: v_dual_mul_f32 v20, v1, v18
	v_dual_mul_f32 v21, v2, v18 :: v_dual_mul_f32 v22, v3, v18
	;; [unrolled: 1-line block ×9, first 2 shown]
	v_dual_cndmask_b32 v0, v0, v19, s18 :: v_dual_cndmask_b32 v1, v1, v20, s1
	v_dual_cndmask_b32 v2, v2, v21, s2 :: v_dual_cndmask_b32 v3, v3, v22, s3
	;; [unrolled: 1-line block ×9, first 2 shown]
.LBB10_42:
	v_mul_lo_u32 v18, v92, s29
	s_mov_b32 s0, exec_lo
	s_delay_alu instid0(VALU_DEP_1) | instskip(NEXT) | instid1(VALU_DEP_1)
	v_ashrrev_i32_e32 v19, 31, v18
	v_lshl_add_u64 v[18:19], v[18:19], 2, s[22:23]
	v_cmpx_gt_i32_e64 s29, v93
	s_cbranch_execnz .LBB10_62
; %bb.43:
	s_or_b32 exec_lo, exec_lo, s0
	s_delay_alu instid0(SALU_CYCLE_1)
	s_mov_b32 s0, exec_lo
	v_cmpx_gt_i32_e64 s29, v110
	s_cbranch_execnz .LBB10_63
.LBB10_44:
	s_or_b32 exec_lo, exec_lo, s0
	s_delay_alu instid0(SALU_CYCLE_1)
	s_mov_b32 s0, exec_lo
	v_cmpx_gt_i32_e64 s29, v109
	s_cbranch_execnz .LBB10_64
.LBB10_45:
	s_or_b32 exec_lo, exec_lo, s0
	s_delay_alu instid0(SALU_CYCLE_1)
	s_mov_b32 s0, exec_lo
	v_cmpx_gt_i32_e64 s29, v108
	s_cbranch_execnz .LBB10_65
.LBB10_46:
	s_or_b32 exec_lo, exec_lo, s0
	s_delay_alu instid0(SALU_CYCLE_1)
	s_mov_b32 s0, exec_lo
	v_cmpx_gt_i32_e64 s29, v107
	s_cbranch_execnz .LBB10_66
.LBB10_47:
	s_or_b32 exec_lo, exec_lo, s0
	s_delay_alu instid0(SALU_CYCLE_1)
	s_mov_b32 s0, exec_lo
	v_cmpx_gt_i32_e64 s29, v106
	s_cbranch_execnz .LBB10_67
.LBB10_48:
	s_or_b32 exec_lo, exec_lo, s0
	s_delay_alu instid0(SALU_CYCLE_1)
	s_mov_b32 s0, exec_lo
	v_cmpx_gt_i32_e64 s29, v105
	s_cbranch_execnz .LBB10_68
.LBB10_49:
	s_or_b32 exec_lo, exec_lo, s0
	s_delay_alu instid0(SALU_CYCLE_1)
	s_mov_b32 s0, exec_lo
	v_cmpx_gt_i32_e64 s29, v104
	s_cbranch_execnz .LBB10_69
.LBB10_50:
	s_or_b32 exec_lo, exec_lo, s0
	s_delay_alu instid0(SALU_CYCLE_1)
	s_mov_b32 s0, exec_lo
	v_cmpx_gt_i32_e64 s29, v103
	s_cbranch_execnz .LBB10_70
.LBB10_51:
	s_or_b32 exec_lo, exec_lo, s0
	s_delay_alu instid0(SALU_CYCLE_1)
	s_mov_b32 s0, exec_lo
	v_cmpx_gt_i32_e64 s29, v102
	s_cbranch_execnz .LBB10_71
.LBB10_52:
	s_or_b32 exec_lo, exec_lo, s0
	s_delay_alu instid0(SALU_CYCLE_1)
	s_mov_b32 s0, exec_lo
	v_cmpx_gt_i32_e64 s29, v101
	s_cbranch_execnz .LBB10_72
.LBB10_53:
	s_or_b32 exec_lo, exec_lo, s0
	s_delay_alu instid0(SALU_CYCLE_1)
	s_mov_b32 s0, exec_lo
	v_cmpx_gt_i32_e64 s29, v100
	s_cbranch_execnz .LBB10_73
.LBB10_54:
	s_or_b32 exec_lo, exec_lo, s0
	s_delay_alu instid0(SALU_CYCLE_1)
	s_mov_b32 s0, exec_lo
	v_cmpx_gt_i32_e64 s29, v99
	s_cbranch_execnz .LBB10_74
.LBB10_55:
	s_or_b32 exec_lo, exec_lo, s0
	s_delay_alu instid0(SALU_CYCLE_1)
	s_mov_b32 s0, exec_lo
	v_cmpx_gt_i32_e64 s29, v98
	s_cbranch_execnz .LBB10_75
.LBB10_56:
	s_or_b32 exec_lo, exec_lo, s0
	s_delay_alu instid0(SALU_CYCLE_1)
	s_mov_b32 s0, exec_lo
	v_cmpx_gt_i32_e64 s29, v97
	s_cbranch_execnz .LBB10_76
.LBB10_57:
	s_or_b32 exec_lo, exec_lo, s0
	s_delay_alu instid0(SALU_CYCLE_1)
	s_mov_b32 s0, exec_lo
	v_cmpx_gt_i32_e64 s29, v96
	s_cbranch_execnz .LBB10_77
.LBB10_58:
	s_or_b32 exec_lo, exec_lo, s0
	s_delay_alu instid0(SALU_CYCLE_1)
	s_mov_b32 s0, exec_lo
	v_cmpx_gt_i32_e64 s29, v95
	s_cbranch_execnz .LBB10_78
.LBB10_59:
	s_or_b32 exec_lo, exec_lo, s0
	v_cmp_gt_i32_e32 vcc_lo, s29, v94
	s_and_b32 exec_lo, exec_lo, vcc_lo
	s_cbranch_execz .LBB10_61
.LBB10_60:
	v_dual_mov_b32 v67, 0 :: v_dual_mul_f32 v2, s31, v17
	s_delay_alu instid0(VALU_DEP_1)
	v_add_nc_u64_e32 v[0:1], v[18:19], v[66:67]
	global_store_b32 v[0:1], v2, off offset:2176
.LBB10_61:
	s_sendmsg sendmsg(MSG_DEALLOC_VGPRS)
	s_endpgm
.LBB10_62:
	v_dual_mov_b32 v67, 0 :: v_dual_mul_f32 v0, s31, v0
	s_delay_alu instid0(VALU_DEP_1) | instskip(SKIP_3) | instid1(SALU_CYCLE_1)
	v_add_nc_u64_e32 v[20:21], v[18:19], v[66:67]
	global_store_b32 v[20:21], v0, off
	s_wait_xcnt 0x0
	s_or_b32 exec_lo, exec_lo, s0
	s_mov_b32 s0, exec_lo
	v_cmpx_gt_i32_e64 s29, v110
	s_cbranch_execz .LBB10_44
.LBB10_63:
	v_dual_mov_b32 v67, 0 :: v_dual_mul_f32 v0, s31, v1
	s_delay_alu instid0(VALU_DEP_1) | instskip(SKIP_3) | instid1(SALU_CYCLE_1)
	v_add_nc_u64_e32 v[20:21], v[18:19], v[66:67]
	global_store_b32 v[20:21], v0, off offset:128
	s_wait_xcnt 0x0
	s_or_b32 exec_lo, exec_lo, s0
	s_mov_b32 s0, exec_lo
	v_cmpx_gt_i32_e64 s29, v109
	s_cbranch_execz .LBB10_45
.LBB10_64:
	v_dual_mov_b32 v67, 0 :: v_dual_mul_f32 v2, s31, v2
	s_delay_alu instid0(VALU_DEP_1) | instskip(SKIP_3) | instid1(SALU_CYCLE_1)
	v_add_nc_u64_e32 v[0:1], v[18:19], v[66:67]
	global_store_b32 v[0:1], v2, off offset:256
	s_wait_xcnt 0x0
	s_or_b32 exec_lo, exec_lo, s0
	s_mov_b32 s0, exec_lo
	v_cmpx_gt_i32_e64 s29, v108
	s_cbranch_execz .LBB10_46
.LBB10_65:
	v_dual_mov_b32 v67, 0 :: v_dual_mul_f32 v2, s31, v3
	s_delay_alu instid0(VALU_DEP_1) | instskip(SKIP_3) | instid1(SALU_CYCLE_1)
	v_add_nc_u64_e32 v[0:1], v[18:19], v[66:67]
	global_store_b32 v[0:1], v2, off offset:384
	s_wait_xcnt 0x0
	s_or_b32 exec_lo, exec_lo, s0
	s_mov_b32 s0, exec_lo
	v_cmpx_gt_i32_e64 s29, v107
	s_cbranch_execz .LBB10_47
.LBB10_66:
	v_dual_mov_b32 v67, 0 :: v_dual_mul_f32 v2, s31, v4
	s_delay_alu instid0(VALU_DEP_1) | instskip(SKIP_3) | instid1(SALU_CYCLE_1)
	v_add_nc_u64_e32 v[0:1], v[18:19], v[66:67]
	global_store_b32 v[0:1], v2, off offset:512
	s_wait_xcnt 0x0
	s_or_b32 exec_lo, exec_lo, s0
	s_mov_b32 s0, exec_lo
	v_cmpx_gt_i32_e64 s29, v106
	s_cbranch_execz .LBB10_48
.LBB10_67:
	v_dual_mov_b32 v67, 0 :: v_dual_mul_f32 v2, s31, v5
	s_delay_alu instid0(VALU_DEP_1) | instskip(SKIP_3) | instid1(SALU_CYCLE_1)
	v_add_nc_u64_e32 v[0:1], v[18:19], v[66:67]
	global_store_b32 v[0:1], v2, off offset:640
	s_wait_xcnt 0x0
	s_or_b32 exec_lo, exec_lo, s0
	s_mov_b32 s0, exec_lo
	v_cmpx_gt_i32_e64 s29, v105
	s_cbranch_execz .LBB10_49
.LBB10_68:
	v_dual_mov_b32 v67, 0 :: v_dual_mul_f32 v2, s31, v6
	s_delay_alu instid0(VALU_DEP_1) | instskip(SKIP_3) | instid1(SALU_CYCLE_1)
	v_add_nc_u64_e32 v[0:1], v[18:19], v[66:67]
	global_store_b32 v[0:1], v2, off offset:768
	s_wait_xcnt 0x0
	s_or_b32 exec_lo, exec_lo, s0
	s_mov_b32 s0, exec_lo
	v_cmpx_gt_i32_e64 s29, v104
	s_cbranch_execz .LBB10_50
.LBB10_69:
	v_dual_mov_b32 v67, 0 :: v_dual_mul_f32 v2, s31, v7
	s_delay_alu instid0(VALU_DEP_1) | instskip(SKIP_3) | instid1(SALU_CYCLE_1)
	v_add_nc_u64_e32 v[0:1], v[18:19], v[66:67]
	global_store_b32 v[0:1], v2, off offset:896
	s_wait_xcnt 0x0
	s_or_b32 exec_lo, exec_lo, s0
	s_mov_b32 s0, exec_lo
	v_cmpx_gt_i32_e64 s29, v103
	s_cbranch_execz .LBB10_51
.LBB10_70:
	v_dual_mov_b32 v67, 0 :: v_dual_mul_f32 v2, s31, v8
	s_delay_alu instid0(VALU_DEP_1) | instskip(SKIP_3) | instid1(SALU_CYCLE_1)
	v_add_nc_u64_e32 v[0:1], v[18:19], v[66:67]
	global_store_b32 v[0:1], v2, off offset:1024
	s_wait_xcnt 0x0
	s_or_b32 exec_lo, exec_lo, s0
	s_mov_b32 s0, exec_lo
	v_cmpx_gt_i32_e64 s29, v102
	s_cbranch_execz .LBB10_52
.LBB10_71:
	v_dual_mov_b32 v67, 0 :: v_dual_mul_f32 v2, s31, v9
	s_delay_alu instid0(VALU_DEP_1) | instskip(SKIP_3) | instid1(SALU_CYCLE_1)
	v_add_nc_u64_e32 v[0:1], v[18:19], v[66:67]
	global_store_b32 v[0:1], v2, off offset:1152
	s_wait_xcnt 0x0
	s_or_b32 exec_lo, exec_lo, s0
	s_mov_b32 s0, exec_lo
	v_cmpx_gt_i32_e64 s29, v101
	s_cbranch_execz .LBB10_53
.LBB10_72:
	v_dual_mov_b32 v67, 0 :: v_dual_mul_f32 v2, s31, v10
	s_delay_alu instid0(VALU_DEP_1) | instskip(SKIP_3) | instid1(SALU_CYCLE_1)
	v_add_nc_u64_e32 v[0:1], v[18:19], v[66:67]
	global_store_b32 v[0:1], v2, off offset:1280
	s_wait_xcnt 0x0
	s_or_b32 exec_lo, exec_lo, s0
	s_mov_b32 s0, exec_lo
	v_cmpx_gt_i32_e64 s29, v100
	s_cbranch_execz .LBB10_54
.LBB10_73:
	v_dual_mov_b32 v67, 0 :: v_dual_mul_f32 v2, s31, v11
	s_delay_alu instid0(VALU_DEP_1) | instskip(SKIP_3) | instid1(SALU_CYCLE_1)
	v_add_nc_u64_e32 v[0:1], v[18:19], v[66:67]
	global_store_b32 v[0:1], v2, off offset:1408
	s_wait_xcnt 0x0
	s_or_b32 exec_lo, exec_lo, s0
	s_mov_b32 s0, exec_lo
	v_cmpx_gt_i32_e64 s29, v99
	s_cbranch_execz .LBB10_55
.LBB10_74:
	v_dual_mov_b32 v67, 0 :: v_dual_mul_f32 v2, s31, v12
	s_delay_alu instid0(VALU_DEP_1) | instskip(SKIP_3) | instid1(SALU_CYCLE_1)
	v_add_nc_u64_e32 v[0:1], v[18:19], v[66:67]
	global_store_b32 v[0:1], v2, off offset:1536
	s_wait_xcnt 0x0
	s_or_b32 exec_lo, exec_lo, s0
	s_mov_b32 s0, exec_lo
	v_cmpx_gt_i32_e64 s29, v98
	s_cbranch_execz .LBB10_56
.LBB10_75:
	v_dual_mov_b32 v67, 0 :: v_dual_mul_f32 v2, s31, v13
	s_delay_alu instid0(VALU_DEP_1) | instskip(SKIP_3) | instid1(SALU_CYCLE_1)
	v_add_nc_u64_e32 v[0:1], v[18:19], v[66:67]
	global_store_b32 v[0:1], v2, off offset:1664
	s_wait_xcnt 0x0
	s_or_b32 exec_lo, exec_lo, s0
	s_mov_b32 s0, exec_lo
	v_cmpx_gt_i32_e64 s29, v97
	s_cbranch_execz .LBB10_57
.LBB10_76:
	v_dual_mov_b32 v67, 0 :: v_dual_mul_f32 v2, s31, v14
	s_delay_alu instid0(VALU_DEP_1) | instskip(SKIP_3) | instid1(SALU_CYCLE_1)
	v_add_nc_u64_e32 v[0:1], v[18:19], v[66:67]
	global_store_b32 v[0:1], v2, off offset:1792
	s_wait_xcnt 0x0
	s_or_b32 exec_lo, exec_lo, s0
	s_mov_b32 s0, exec_lo
	v_cmpx_gt_i32_e64 s29, v96
	s_cbranch_execz .LBB10_58
.LBB10_77:
	v_dual_mov_b32 v67, 0 :: v_dual_mul_f32 v2, s31, v15
	s_delay_alu instid0(VALU_DEP_1) | instskip(SKIP_3) | instid1(SALU_CYCLE_1)
	v_add_nc_u64_e32 v[0:1], v[18:19], v[66:67]
	global_store_b32 v[0:1], v2, off offset:1920
	s_wait_xcnt 0x0
	s_or_b32 exec_lo, exec_lo, s0
	s_mov_b32 s0, exec_lo
	v_cmpx_gt_i32_e64 s29, v95
	s_cbranch_execz .LBB10_59
.LBB10_78:
	v_dual_mov_b32 v67, 0 :: v_dual_mul_f32 v2, s31, v16
	s_delay_alu instid0(VALU_DEP_1)
	v_add_nc_u64_e32 v[0:1], v[18:19], v[66:67]
	global_store_b32 v[0:1], v2, off offset:2048
	s_wait_xcnt 0x0
	s_or_b32 exec_lo, exec_lo, s0
	v_cmp_gt_i32_e32 vcc_lo, s29, v94
	s_and_b32 exec_lo, exec_lo, vcc_lo
	s_cbranch_execnz .LBB10_60
	s_branch .LBB10_61
	.section	.rodata,"a",@progbits
	.p2align	6, 0x0
	.amdhsa_kernel _Z13topk_moe_cudaILi576ELb1EEvPKfPfPiS2_iiff15topk_moe_config
		.amdhsa_group_segment_fixed_size 0
		.amdhsa_private_segment_fixed_size 0
		.amdhsa_kernarg_size 312
		.amdhsa_user_sgpr_count 2
		.amdhsa_user_sgpr_dispatch_ptr 0
		.amdhsa_user_sgpr_queue_ptr 0
		.amdhsa_user_sgpr_kernarg_segment_ptr 1
		.amdhsa_user_sgpr_dispatch_id 0
		.amdhsa_user_sgpr_kernarg_preload_length 0
		.amdhsa_user_sgpr_kernarg_preload_offset 0
		.amdhsa_user_sgpr_private_segment_size 0
		.amdhsa_wavefront_size32 1
		.amdhsa_uses_dynamic_stack 0
		.amdhsa_enable_private_segment 0
		.amdhsa_system_sgpr_workgroup_id_x 1
		.amdhsa_system_sgpr_workgroup_id_y 0
		.amdhsa_system_sgpr_workgroup_id_z 0
		.amdhsa_system_sgpr_workgroup_info 0
		.amdhsa_system_vgpr_workitem_id 1
		.amdhsa_next_free_vgpr 116
		.amdhsa_next_free_sgpr 32
		.amdhsa_named_barrier_count 0
		.amdhsa_reserve_vcc 1
		.amdhsa_float_round_mode_32 0
		.amdhsa_float_round_mode_16_64 0
		.amdhsa_float_denorm_mode_32 3
		.amdhsa_float_denorm_mode_16_64 3
		.amdhsa_fp16_overflow 0
		.amdhsa_memory_ordered 1
		.amdhsa_forward_progress 1
		.amdhsa_inst_pref_size 112
		.amdhsa_round_robin_scheduling 0
		.amdhsa_exception_fp_ieee_invalid_op 0
		.amdhsa_exception_fp_denorm_src 0
		.amdhsa_exception_fp_ieee_div_zero 0
		.amdhsa_exception_fp_ieee_overflow 0
		.amdhsa_exception_fp_ieee_underflow 0
		.amdhsa_exception_fp_ieee_inexact 0
		.amdhsa_exception_int_div_zero 0
	.end_amdhsa_kernel
	.section	.text._Z13topk_moe_cudaILi576ELb1EEvPKfPfPiS2_iiff15topk_moe_config,"axG",@progbits,_Z13topk_moe_cudaILi576ELb1EEvPKfPfPiS2_iiff15topk_moe_config,comdat
.Lfunc_end10:
	.size	_Z13topk_moe_cudaILi576ELb1EEvPKfPfPiS2_iiff15topk_moe_config, .Lfunc_end10-_Z13topk_moe_cudaILi576ELb1EEvPKfPfPiS2_iiff15topk_moe_config
                                        ; -- End function
	.set _Z13topk_moe_cudaILi576ELb1EEvPKfPfPiS2_iiff15topk_moe_config.num_vgpr, 116
	.set _Z13topk_moe_cudaILi576ELb1EEvPKfPfPiS2_iiff15topk_moe_config.num_agpr, 0
	.set _Z13topk_moe_cudaILi576ELb1EEvPKfPfPiS2_iiff15topk_moe_config.numbered_sgpr, 32
	.set _Z13topk_moe_cudaILi576ELb1EEvPKfPfPiS2_iiff15topk_moe_config.num_named_barrier, 0
	.set _Z13topk_moe_cudaILi576ELb1EEvPKfPfPiS2_iiff15topk_moe_config.private_seg_size, 0
	.set _Z13topk_moe_cudaILi576ELb1EEvPKfPfPiS2_iiff15topk_moe_config.uses_vcc, 1
	.set _Z13topk_moe_cudaILi576ELb1EEvPKfPfPiS2_iiff15topk_moe_config.uses_flat_scratch, 0
	.set _Z13topk_moe_cudaILi576ELb1EEvPKfPfPiS2_iiff15topk_moe_config.has_dyn_sized_stack, 0
	.set _Z13topk_moe_cudaILi576ELb1EEvPKfPfPiS2_iiff15topk_moe_config.has_recursion, 0
	.set _Z13topk_moe_cudaILi576ELb1EEvPKfPfPiS2_iiff15topk_moe_config.has_indirect_call, 0
	.section	.AMDGPU.csdata,"",@progbits
; Kernel info:
; codeLenInByte = 14288
; TotalNumSgprs: 34
; NumVgprs: 116
; ScratchSize: 0
; MemoryBound: 0
; FloatMode: 240
; IeeeMode: 1
; LDSByteSize: 0 bytes/workgroup (compile time only)
; SGPRBlocks: 0
; VGPRBlocks: 7
; NumSGPRsForWavesPerEU: 34
; NumVGPRsForWavesPerEU: 116
; NamedBarCnt: 0
; Occupancy: 8
; WaveLimiterHint : 1
; COMPUTE_PGM_RSRC2:SCRATCH_EN: 0
; COMPUTE_PGM_RSRC2:USER_SGPR: 2
; COMPUTE_PGM_RSRC2:TRAP_HANDLER: 0
; COMPUTE_PGM_RSRC2:TGID_X_EN: 1
; COMPUTE_PGM_RSRC2:TGID_Y_EN: 0
; COMPUTE_PGM_RSRC2:TGID_Z_EN: 0
; COMPUTE_PGM_RSRC2:TIDIG_COMP_CNT: 1
	.section	.text._Z13topk_moe_cudaILi1ELb0EEvPKfPfPiS2_iiff15topk_moe_config,"axG",@progbits,_Z13topk_moe_cudaILi1ELb0EEvPKfPfPiS2_iiff15topk_moe_config,comdat
	.protected	_Z13topk_moe_cudaILi1ELb0EEvPKfPfPiS2_iiff15topk_moe_config ; -- Begin function _Z13topk_moe_cudaILi1ELb0EEvPKfPfPiS2_iiff15topk_moe_config
	.globl	_Z13topk_moe_cudaILi1ELb0EEvPKfPfPiS2_iiff15topk_moe_config
	.p2align	8
	.type	_Z13topk_moe_cudaILi1ELb0EEvPKfPfPiS2_iiff15topk_moe_config,@function
_Z13topk_moe_cudaILi1ELb0EEvPKfPfPiS2_iiff15topk_moe_config: ; @_Z13topk_moe_cudaILi1ELb0EEvPKfPfPiS2_iiff15topk_moe_config
; %bb.0:
	s_clause 0x1
	s_load_u16 s2, s[0:1], 0x46
	s_load_b128 s[4:7], s[0:1], 0x20
	s_bfe_u32 s3, ttmp6, 0x4000c
	s_and_b32 s8, ttmp6, 15
	s_add_co_i32 s3, s3, 1
	v_bfe_u32 v1, v0, 10, 10
	s_mul_i32 s3, ttmp9, s3
	s_delay_alu instid0(SALU_CYCLE_1) | instskip(SKIP_1) | instid1(SALU_CYCLE_1)
	s_add_co_i32 s8, s8, s3
	s_getreg_b32 s3, hwreg(HW_REG_IB_STS2, 6, 4)
	s_cmp_eq_u32 s3, 0
	s_cselect_b32 s3, ttmp9, s8
	s_wait_kmcnt 0x0
	v_mad_u32 v2, s3, s2, v1
	s_mov_b32 s2, exec_lo
	s_delay_alu instid0(VALU_DEP_1)
	v_cmpx_gt_i32_e64 s4, v2
	s_cbranch_execz .LBB11_41
; %bb.1:
	v_dual_mov_b32 v3, 0 :: v_dual_mov_b32 v8, 0xff800000
	v_and_b32_e32 v4, 0x3ff, v0
	s_clause 0x1
	global_load_u16 v1, v3, s[0:1] offset:48
	global_load_i8 v5, v3, s[0:1] offset:50
	s_clause 0x1
	s_load_b128 s[8:11], s[0:1], 0x0
	s_load_b64 s[2:3], s[0:1], 0x10
	v_ashrrev_i32_e32 v3, 31, v2
	s_wait_xcnt 0x0
	s_mov_b32 s0, exec_lo
	s_wait_loadcnt 0x1
	v_readfirstlane_b32 s1, v1
	v_cmpx_eq_u32_e32 0, v4
	s_cbranch_execz .LBB11_3
; %bb.2:
	s_wait_kmcnt 0x0
	v_lshl_add_u64 v[6:7], v[2:3], 2, s[8:9]
	global_load_b32 v8, v[6:7], off
.LBB11_3:
	s_wait_xcnt 0x0
	s_or_b32 exec_lo, exec_lo, s0
	s_wait_loadcnt 0x0
	v_and_b32_e32 v0, 1, v5
	s_delay_alu instid0(VALU_DEP_1)
	v_cmp_eq_u32_e64 s0, 1, v0
	s_and_b32 vcc_lo, exec_lo, s0
	s_cbranch_vccnz .LBB11_9
; %bb.4:
	v_and_b32_e32 v0, 1, v1
	s_mov_b32 s4, 0
	s_delay_alu instid0(VALU_DEP_1)
	v_cmp_eq_u32_e32 vcc_lo, 0, v0
	s_cbranch_vccz .LBB11_6
; %bb.5:
	v_mbcnt_lo_u32_b32 v0, -1, 0
	s_delay_alu instid0(VALU_DEP_1) | instskip(SKIP_4) | instid1(VALU_DEP_4)
	v_xor_b32_e32 v7, 8, v0
	v_xor_b32_e32 v1, 16, v0
	;; [unrolled: 1-line block ×5, first 2 shown]
	v_cmp_gt_i32_e32 vcc_lo, 32, v1
	v_cndmask_b32_e32 v1, v0, v1, vcc_lo
	s_delay_alu instid0(VALU_DEP_1) | instskip(NEXT) | instid1(VALU_DEP_1)
	v_dual_max_num_f32 v5, v8, v8 :: v_dual_lshlrev_b32 v1, 2, v1
	v_max_num_f32_e32 v5, 0xff800000, v5
	ds_bpermute_b32 v6, v1, v5
	s_wait_dscnt 0x0
	v_max_num_f32_e32 v6, v6, v6
	s_delay_alu instid0(VALU_DEP_1) | instskip(SKIP_3) | instid1(VALU_DEP_2)
	v_max_num_f32_e32 v5, v5, v6
	v_cmp_gt_i32_e32 vcc_lo, 32, v7
	v_cndmask_b32_e32 v7, v0, v7, vcc_lo
	v_cmp_gt_i32_e32 vcc_lo, 32, v9
	v_lshlrev_b32_e32 v7, 2, v7
	ds_bpermute_b32 v6, v7, v5
	s_wait_dscnt 0x0
	v_dual_max_num_f32 v6, v6, v6 :: v_dual_cndmask_b32 v9, v0, v9
	v_cmp_gt_i32_e32 vcc_lo, 32, v10
	s_delay_alu instid0(VALU_DEP_2)
	v_dual_max_num_f32 v5, v5, v6 :: v_dual_lshlrev_b32 v9, 2, v9
	v_cndmask_b32_e32 v10, v0, v10, vcc_lo
	v_cmp_gt_i32_e32 vcc_lo, 32, v11
	ds_bpermute_b32 v6, v9, v5
	v_dual_cndmask_b32 v0, v0, v11, vcc_lo :: v_dual_lshlrev_b32 v10, 2, v10
	s_wait_dscnt 0x0
	s_delay_alu instid0(VALU_DEP_1) | instskip(NEXT) | instid1(VALU_DEP_1)
	v_dual_lshlrev_b32 v0, 2, v0 :: v_dual_max_num_f32 v6, v6, v6
	v_max_num_f32_e32 v5, v5, v6
	ds_bpermute_b32 v6, v10, v5
	s_wait_dscnt 0x0
	v_max_num_f32_e32 v6, v6, v6
	s_delay_alu instid0(VALU_DEP_1) | instskip(SKIP_3) | instid1(VALU_DEP_1)
	v_max_num_f32_e32 v5, v5, v6
	ds_bpermute_b32 v6, v0, v5
	s_wait_dscnt 0x0
	v_max_num_f32_e32 v6, v6, v6
	v_max_num_f32_e32 v5, v5, v6
	s_delay_alu instid0(VALU_DEP_1) | instskip(NEXT) | instid1(VALU_DEP_1)
	v_sub_f32_e32 v5, v8, v5
	v_mul_f32_e32 v6, 0x3fb8aa3b, v5
	s_delay_alu instid0(VALU_DEP_1) | instskip(SKIP_1) | instid1(VALU_DEP_1)
	v_fma_f32 v11, 0x3fb8aa3b, v5, -v6
	v_rndne_f32_e32 v12, v6
	v_dual_fmamk_f32 v11, v5, 0x32a5705f, v11 :: v_dual_sub_f32 v6, v6, v12
	s_delay_alu instid0(VALU_DEP_1) | instskip(SKIP_2) | instid1(VALU_DEP_3)
	v_add_f32_e32 v6, v6, v11
	v_cvt_i32_f32_e32 v11, v12
	v_cmp_ngt_f32_e32 vcc_lo, 0xc2ce8ed0, v5
	v_exp_f32_e32 v6, v6
	v_nop
	s_delay_alu instid0(TRANS32_DEP_1) | instskip(NEXT) | instid1(VALU_DEP_1)
	v_ldexp_f32 v6, v6, v11
	v_cndmask_b32_e32 v6, 0, v6, vcc_lo
	v_cmp_nlt_f32_e32 vcc_lo, 0x42b17218, v5
	s_delay_alu instid0(VALU_DEP_2)
	v_cndmask_b32_e32 v5, 0x7f800000, v6, vcc_lo
	ds_bpermute_b32 v1, v1, v5
	s_wait_dscnt 0x0
	v_add_f32_e32 v1, v5, v1
	ds_bpermute_b32 v6, v7, v1
	s_wait_dscnt 0x0
	v_add_f32_e32 v1, v1, v6
	;; [unrolled: 3-line block ×5, first 2 shown]
	s_delay_alu instid0(VALU_DEP_1) | instskip(NEXT) | instid1(VALU_DEP_1)
	v_div_scale_f32 v1, null, v0, v0, 1.0
	v_rcp_f32_e32 v6, v1
	v_nop
	s_delay_alu instid0(TRANS32_DEP_1) | instskip(NEXT) | instid1(VALU_DEP_1)
	v_fma_f32 v7, -v1, v6, 1.0
	v_fmac_f32_e32 v6, v7, v6
	v_div_scale_f32 v7, vcc_lo, 1.0, v0, 1.0
	s_delay_alu instid0(VALU_DEP_1) | instskip(NEXT) | instid1(VALU_DEP_1)
	v_mul_f32_e32 v9, v7, v6
	v_fma_f32 v10, -v1, v9, v7
	s_delay_alu instid0(VALU_DEP_1) | instskip(NEXT) | instid1(VALU_DEP_1)
	v_fmac_f32_e32 v9, v10, v6
	v_fma_f32 v1, -v1, v9, v7
	s_delay_alu instid0(VALU_DEP_1) | instskip(NEXT) | instid1(VALU_DEP_1)
	v_div_fmas_f32 v1, v1, v6, v9
	v_div_fixup_f32 v0, v1, v0, 1.0
	s_delay_alu instid0(VALU_DEP_1)
	v_mul_f32_e32 v0, v5, v0
	s_and_not1_b32 vcc_lo, exec_lo, s4
	s_cbranch_vccz .LBB11_7
	s_branch .LBB11_8
.LBB11_6:
                                        ; implicit-def: $vgpr0
.LBB11_7:
	v_mul_f32_e32 v0, 0xbfb8aa3b, v8
	v_cmp_nlt_f32_e32 vcc_lo, 0x42ce8ed0, v8
	s_delay_alu instid0(VALU_DEP_2) | instskip(SKIP_1) | instid1(VALU_DEP_2)
	v_rndne_f32_e32 v1, v0
	v_fma_f32 v5, 0xbfb8aa3b, v8, -v0
	v_sub_f32_e32 v0, v0, v1
	s_delay_alu instid0(VALU_DEP_2) | instskip(SKIP_1) | instid1(VALU_DEP_2)
	v_fmamk_f32 v5, v8, 0xb2a5705f, v5
	v_cvt_i32_f32_e32 v1, v1
	v_add_f32_e32 v0, v0, v5
	s_delay_alu instid0(VALU_DEP_1) | instskip(SKIP_1) | instid1(TRANS32_DEP_1)
	v_exp_f32_e32 v0, v0
	v_nop
	v_ldexp_f32 v0, v0, v1
	s_delay_alu instid0(VALU_DEP_1) | instskip(SKIP_1) | instid1(VALU_DEP_2)
	v_cndmask_b32_e32 v0, 0, v0, vcc_lo
	v_cmp_ngt_f32_e32 vcc_lo, 0xc2b17218, v8
	v_cndmask_b32_e32 v0, 0x7f800000, v0, vcc_lo
	s_delay_alu instid0(VALU_DEP_1) | instskip(NEXT) | instid1(VALU_DEP_1)
	v_add_f32_e32 v0, 1.0, v0
	v_div_scale_f32 v1, null, v0, v0, 1.0
	s_delay_alu instid0(VALU_DEP_1) | instskip(SKIP_1) | instid1(TRANS32_DEP_1)
	v_rcp_f32_e32 v5, v1
	v_nop
	v_fma_f32 v6, -v1, v5, 1.0
	s_delay_alu instid0(VALU_DEP_1) | instskip(SKIP_1) | instid1(VALU_DEP_1)
	v_fmac_f32_e32 v5, v6, v5
	v_div_scale_f32 v6, vcc_lo, 1.0, v0, 1.0
	v_mul_f32_e32 v7, v6, v5
	s_delay_alu instid0(VALU_DEP_1) | instskip(NEXT) | instid1(VALU_DEP_1)
	v_fma_f32 v8, -v1, v7, v6
	v_fmac_f32_e32 v7, v8, v5
	s_delay_alu instid0(VALU_DEP_1) | instskip(NEXT) | instid1(VALU_DEP_1)
	v_fma_f32 v1, -v1, v7, v6
	v_div_fmas_f32 v1, v1, v5, v7
	s_delay_alu instid0(VALU_DEP_1)
	v_div_fixup_f32 v0, v1, v0, 1.0
.LBB11_8:
	s_delay_alu instid0(VALU_DEP_1)
	v_mov_b32_e32 v8, v0
.LBB11_9:
	s_lshr_b32 s1, s1, 8
	s_cmp_gt_i32 s5, 0
	s_wait_kmcnt 0x0
	s_mov_b32 s8, 0
	s_cbranch_scc1 .LBB11_11
; %bb.10:
	s_bitcmp1_b32 s1, 0
	s_cselect_b32 s4, -1, 0
	s_branch .LBB11_12
.LBB11_11:
	s_mov_b32 s8, -1
                                        ; implicit-def: $sgpr4
.LBB11_12:
	v_dual_mov_b32 v7, 0 :: v_dual_mov_b32 v6, 0
	v_mbcnt_lo_u32_b32 v5, -1, 0
	s_and_not1_b32 vcc_lo, exec_lo, s8
	s_cbranch_vccnz .LBB11_37
; %bb.13:
	v_cmp_o_f32_e32 vcc_lo, v8, v8
	s_delay_alu instid0(VALU_DEP_2)
	v_xor_b32_e32 v7, 8, v5
	v_xor_b32_e32 v6, 16, v5
	v_lshl_add_u64 v[0:1], v[2:3], 2, s[2:3]
	s_bitcmp1_b32 s1, 0
	v_cndmask_b32_e32 v3, 0xff7fffff, v8, vcc_lo
	s_mov_b32 s2, 0
	v_cmp_gt_i32_e32 vcc_lo, 32, v6
	s_cselect_b32 s4, -1, 0
	v_cndmask_b32_e32 v6, v5, v6, vcc_lo
	v_cmp_gt_i32_e32 vcc_lo, 32, v7
	v_dual_cndmask_b32 v7, v5, v7, vcc_lo :: v_dual_bitop2_b32 v10, 1, v5 bitop3:0x14
	v_xor_b32_e32 v8, 4, v5
	s_delay_alu instid0(VALU_DEP_1) | instskip(SKIP_1) | instid1(VALU_DEP_1)
	v_cmp_gt_i32_e32 vcc_lo, 32, v8
	v_dual_cndmask_b32 v11, v5, v8, vcc_lo :: v_dual_bitop2_b32 v9, 2, v5 bitop3:0x14
	v_cmp_gt_i32_e32 vcc_lo, 32, v9
	v_dual_lshlrev_b32 v8, 2, v6 :: v_dual_mov_b32 v6, 0
	v_dual_cndmask_b32 v12, v5, v9 :: v_dual_lshlrev_b32 v9, 2, v7
	v_cmp_gt_i32_e32 vcc_lo, 32, v10
	v_dual_mov_b32 v7, 0 :: v_dual_cndmask_b32 v13, v5, v10, vcc_lo
	s_delay_alu instid0(VALU_DEP_3) | instskip(NEXT) | instid1(VALU_DEP_2)
	v_dual_lshlrev_b32 v10, 2, v11 :: v_dual_lshlrev_b32 v11, 2, v12
	v_lshlrev_b32_e32 v12, 2, v13
	s_branch .LBB11_15
.LBB11_14:                              ;   in Loop: Header=BB11_15 Depth=1
	s_wait_xcnt 0x0
	s_or_b32 exec_lo, exec_lo, s1
	s_and_b32 s1, s2, 31
	v_cndmask_b32_e64 v3, v3, 0xff800000, vcc_lo
	v_cmp_eq_u32_e32 vcc_lo, s1, v4
	v_add_nc_u64_e32 v[0:1], 4, v[0:1]
	s_add_co_i32 s2, s2, 1
	s_delay_alu instid0(SALU_CYCLE_1)
	s_cmp_eq_u32 s5, s2
	v_cndmask_b32_e32 v6, v6, v13, vcc_lo
	s_cbranch_scc1 .LBB11_37
.LBB11_15:                              ; =>This Inner Loop Header: Depth=1
	s_wait_dscnt 0x0
	ds_bpermute_b32 v16, v8, v3
	ds_bpermute_b32 v17, v8, v4
	s_mov_b32 s8, exec_lo
	s_wait_dscnt 0x1
	v_cmp_lt_f32_e64 s3, v3, v16
	v_cmpx_nlt_f32_e32 v3, v16
	s_cbranch_execz .LBB11_17
; %bb.16:                               ;   in Loop: Header=BB11_15 Depth=1
	v_cmp_eq_f32_e32 vcc_lo, v3, v16
	s_wait_dscnt 0x0
	v_cmp_lt_i32_e64 s1, v17, v4
	s_and_not1_b32 s3, s3, exec_lo
	s_and_b32 s1, vcc_lo, s1
	s_delay_alu instid0(SALU_CYCLE_1) | instskip(NEXT) | instid1(SALU_CYCLE_1)
	s_and_b32 s1, s1, exec_lo
	s_or_b32 s3, s3, s1
.LBB11_17:                              ;   in Loop: Header=BB11_15 Depth=1
	s_or_b32 exec_lo, exec_lo, s8
	v_dual_mov_b32 v15, v3 :: v_dual_mov_b32 v13, v3
	v_mov_b32_e32 v14, v4
	s_and_saveexec_b32 s1, s3
	s_cbranch_execz .LBB11_19
; %bb.18:                               ;   in Loop: Header=BB11_15 Depth=1
	v_dual_mov_b32 v15, v16 :: v_dual_mov_b32 v13, v16
	s_wait_dscnt 0x0
	v_mov_b32_e32 v14, v17
.LBB11_19:                              ;   in Loop: Header=BB11_15 Depth=1
	s_or_b32 exec_lo, exec_lo, s1
	ds_bpermute_b32 v16, v9, v15
	s_wait_dscnt 0x1
	ds_bpermute_b32 v17, v9, v14
	s_mov_b32 s8, exec_lo
	s_wait_dscnt 0x1
	v_cmp_lt_f32_e64 s3, v13, v16
	v_cmpx_nlt_f32_e32 v13, v16
	s_cbranch_execz .LBB11_21
; %bb.20:                               ;   in Loop: Header=BB11_15 Depth=1
	v_cmp_eq_f32_e32 vcc_lo, v13, v16
	s_wait_dscnt 0x0
	v_cmp_lt_i32_e64 s1, v17, v14
	s_and_not1_b32 s3, s3, exec_lo
	s_and_b32 s1, vcc_lo, s1
	s_delay_alu instid0(SALU_CYCLE_1) | instskip(NEXT) | instid1(SALU_CYCLE_1)
	s_and_b32 s1, s1, exec_lo
	s_or_b32 s3, s3, s1
.LBB11_21:                              ;   in Loop: Header=BB11_15 Depth=1
	s_or_b32 exec_lo, exec_lo, s8
	s_and_saveexec_b32 s1, s3
	s_cbranch_execz .LBB11_23
; %bb.22:                               ;   in Loop: Header=BB11_15 Depth=1
	v_dual_mov_b32 v15, v16 :: v_dual_mov_b32 v13, v16
	s_wait_dscnt 0x0
	v_mov_b32_e32 v14, v17
.LBB11_23:                              ;   in Loop: Header=BB11_15 Depth=1
	s_or_b32 exec_lo, exec_lo, s1
	ds_bpermute_b32 v16, v10, v15
	s_wait_dscnt 0x1
	ds_bpermute_b32 v17, v10, v14
	s_mov_b32 s8, exec_lo
	s_wait_dscnt 0x1
	v_cmp_lt_f32_e64 s3, v13, v16
	v_cmpx_nlt_f32_e32 v13, v16
	s_cbranch_execz .LBB11_25
; %bb.24:                               ;   in Loop: Header=BB11_15 Depth=1
	v_cmp_eq_f32_e32 vcc_lo, v13, v16
	s_wait_dscnt 0x0
	v_cmp_lt_i32_e64 s1, v17, v14
	s_and_not1_b32 s3, s3, exec_lo
	s_and_b32 s1, vcc_lo, s1
	s_delay_alu instid0(SALU_CYCLE_1) | instskip(NEXT) | instid1(SALU_CYCLE_1)
	s_and_b32 s1, s1, exec_lo
	s_or_b32 s3, s3, s1
.LBB11_25:                              ;   in Loop: Header=BB11_15 Depth=1
	s_or_b32 exec_lo, exec_lo, s8
	;; [unrolled: 27-line block ×3, first 2 shown]
	s_and_saveexec_b32 s1, s3
	s_cbranch_execz .LBB11_31
; %bb.30:                               ;   in Loop: Header=BB11_15 Depth=1
	v_dual_mov_b32 v15, v16 :: v_dual_mov_b32 v13, v16
	s_wait_dscnt 0x0
	v_mov_b32_e32 v14, v17
.LBB11_31:                              ;   in Loop: Header=BB11_15 Depth=1
	s_or_b32 exec_lo, exec_lo, s1
	ds_bpermute_b32 v15, v12, v15
	ds_bpermute_b32 v16, v12, v14
	s_mov_b32 s8, exec_lo
	s_wait_dscnt 0x1
	v_cmp_lt_f32_e64 s3, v13, v15
	v_cmpx_nlt_f32_e32 v13, v15
	s_cbranch_execz .LBB11_33
; %bb.32:                               ;   in Loop: Header=BB11_15 Depth=1
	v_cmp_eq_f32_e32 vcc_lo, v13, v15
	s_wait_dscnt 0x0
	v_cmp_lt_i32_e64 s1, v16, v14
	s_and_not1_b32 s3, s3, exec_lo
	s_and_b32 s1, vcc_lo, s1
	s_delay_alu instid0(SALU_CYCLE_1) | instskip(NEXT) | instid1(SALU_CYCLE_1)
	s_and_b32 s1, s1, exec_lo
	s_or_b32 s3, s3, s1
.LBB11_33:                              ;   in Loop: Header=BB11_15 Depth=1
	s_or_b32 exec_lo, exec_lo, s8
	s_and_saveexec_b32 s1, s3
	s_cbranch_execz .LBB11_35
; %bb.34:                               ;   in Loop: Header=BB11_15 Depth=1
	s_wait_dscnt 0x0
	v_dual_mov_b32 v13, v15 :: v_dual_mov_b32 v14, v16
.LBB11_35:                              ;   in Loop: Header=BB11_15 Depth=1
	s_or_b32 exec_lo, exec_lo, s1
	s_delay_alu instid0(VALU_DEP_1) | instskip(NEXT) | instid1(VALU_DEP_1)
	v_and_b32_e32 v15, 31, v14
	v_cmp_eq_u32_e32 vcc_lo, v15, v4
	s_and_saveexec_b32 s1, vcc_lo
	s_cbranch_execz .LBB11_14
; %bb.36:                               ;   in Loop: Header=BB11_15 Depth=1
	v_add_f32_e32 v15, v7, v13
	global_store_b32 v[0:1], v14, off
	v_cndmask_b32_e64 v7, v7, v15, s4
	s_branch .LBB11_14
.LBB11_37:
	s_and_b32 vcc_lo, exec_lo, s4
	s_cbranch_vccnz .LBB11_42
; %bb.38:
	v_cmp_gt_i32_e64 s1, s5, v4
	s_and_not1_b32 vcc_lo, exec_lo, s0
	s_cbranch_vccz .LBB11_43
.LBB11_39:
	v_cmp_gt_i32_e32 vcc_lo, s5, v4
	s_and_b32 exec_lo, exec_lo, vcc_lo
	s_cbranch_execz .LBB11_41
.LBB11_40:
	v_mul_lo_u32 v0, v2, s5
	s_wait_dscnt 0x0
	v_dual_mov_b32 v3, 0 :: v_dual_lshlrev_b32 v2, 2, v4
	s_delay_alu instid0(VALU_DEP_2) | instskip(NEXT) | instid1(VALU_DEP_1)
	v_ashrrev_i32_e32 v1, 31, v0
	v_lshl_add_u64 v[0:1], v[0:1], 2, s[10:11]
	s_delay_alu instid0(VALU_DEP_1)
	v_add_nc_u64_e32 v[0:1], v[0:1], v[2:3]
	v_mul_f32_e32 v2, s7, v6
	global_store_b32 v[0:1], v2, off
.LBB11_41:
	s_endpgm
.LBB11_42:
	v_xor_b32_e32 v3, 4, v5
	v_xor_b32_e32 v0, 16, v5
	;; [unrolled: 1-line block ×3, first 2 shown]
	s_delay_alu instid0(VALU_DEP_2) | instskip(SKIP_1) | instid1(VALU_DEP_3)
	v_cmp_gt_i32_e32 vcc_lo, 32, v0
	v_cndmask_b32_e32 v0, v5, v0, vcc_lo
	v_cmp_gt_i32_e32 vcc_lo, 32, v1
	s_delay_alu instid0(VALU_DEP_2)
	v_dual_cndmask_b32 v1, v5, v1 :: v_dual_lshlrev_b32 v0, 2, v0
	v_cmp_gt_i32_e32 vcc_lo, 32, v3
	ds_bpermute_b32 v0, v0, v7
	v_dual_lshlrev_b32 v1, 2, v1 :: v_dual_cndmask_b32 v3, v5, v3, vcc_lo
	s_wait_dscnt 0x0
	v_add_f32_e32 v0, v7, v0
	ds_bpermute_b32 v1, v1, v0
	s_wait_dscnt 0x0
	v_dual_add_f32 v0, v0, v1 :: v_dual_lshlrev_b32 v3, 2, v3
	ds_bpermute_b32 v1, v3, v0
	v_xor_b32_e32 v3, 2, v5
	s_delay_alu instid0(VALU_DEP_1) | instskip(SKIP_2) | instid1(VALU_DEP_1)
	v_cmp_gt_i32_e32 vcc_lo, 32, v3
	s_wait_dscnt 0x0
	v_dual_cndmask_b32 v3, v5, v3 :: v_dual_add_f32 v0, v0, v1
	v_lshlrev_b32_e32 v3, 2, v3
	ds_bpermute_b32 v1, v3, v0
	v_xor_b32_e32 v3, 1, v5
	s_delay_alu instid0(VALU_DEP_1) | instskip(SKIP_2) | instid1(VALU_DEP_1)
	v_cmp_gt_i32_e32 vcc_lo, 32, v3
	s_wait_dscnt 0x0
	v_dual_add_f32 v0, v0, v1 :: v_dual_cndmask_b32 v3, v5, v3
	v_lshlrev_b32_e32 v3, 2, v3
	ds_bpermute_b32 v1, v3, v0
	v_max_num_f32_e64 v3, s6, s6
	s_wait_dscnt 0x0
	v_add_f32_e32 v0, v0, v1
	s_delay_alu instid0(VALU_DEP_1) | instskip(NEXT) | instid1(VALU_DEP_1)
	v_max_num_f32_e32 v0, v0, v3
	v_div_scale_f32 v1, null, v0, v0, 1.0
	s_delay_alu instid0(VALU_DEP_1) | instskip(SKIP_1) | instid1(TRANS32_DEP_1)
	v_rcp_f32_e32 v3, v1
	v_nop
	v_fma_f32 v7, -v1, v3, 1.0
	s_delay_alu instid0(VALU_DEP_1) | instskip(SKIP_1) | instid1(VALU_DEP_1)
	v_fmac_f32_e32 v3, v7, v3
	v_div_scale_f32 v7, vcc_lo, 1.0, v0, 1.0
	v_mul_f32_e32 v8, v7, v3
	s_delay_alu instid0(VALU_DEP_1) | instskip(NEXT) | instid1(VALU_DEP_1)
	v_fma_f32 v9, -v1, v8, v7
	v_fmac_f32_e32 v8, v9, v3
	s_delay_alu instid0(VALU_DEP_1) | instskip(NEXT) | instid1(VALU_DEP_1)
	v_fma_f32 v1, -v1, v8, v7
	v_div_fmas_f32 v1, v1, v3, v8
	s_delay_alu instid0(VALU_DEP_1) | instskip(NEXT) | instid1(VALU_DEP_1)
	v_div_fixup_f32 v0, v1, v0, 1.0
	v_mul_f32_e32 v6, v0, v6
	v_cmp_gt_i32_e64 s1, s5, v4
	s_and_not1_b32 vcc_lo, exec_lo, s0
	s_cbranch_vccnz .LBB11_39
.LBB11_43:
	v_dual_max_num_f32 v0, v6, v6 :: v_dual_bitop2_b32 v1, 16, v5 bitop3:0x14
	v_xor_b32_e32 v7, 8, v5
	v_xor_b32_e32 v8, 4, v5
	v_xor_b32_e32 v9, 2, v5
	s_delay_alu instid0(VALU_DEP_4) | instskip(SKIP_1) | instid1(VALU_DEP_1)
	v_cmp_gt_i32_e32 vcc_lo, 32, v1
	v_dual_max_num_f32 v0, 0xff800000, v0 :: v_dual_cndmask_b32 v1, v5, v1
	v_cndmask_b32_e64 v0, 0xff800000, v0, s1
	v_cmp_gt_i32_e32 vcc_lo, 32, v7
	s_delay_alu instid0(VALU_DEP_3)
	v_dual_lshlrev_b32 v1, 2, v1 :: v_dual_cndmask_b32 v7, v5, v7, vcc_lo
	v_cmp_gt_i32_e32 vcc_lo, 32, v8
	ds_bpermute_b32 v3, v1, v0
	v_dual_cndmask_b32 v8, v5, v8 :: v_dual_lshlrev_b32 v7, 2, v7
	v_cmp_gt_i32_e32 vcc_lo, 32, v9
	s_wait_dscnt 0x0
	s_delay_alu instid0(VALU_DEP_2) | instskip(NEXT) | instid1(VALU_DEP_1)
	v_dual_max_num_f32 v3, v3, v3 :: v_dual_lshlrev_b32 v8, 2, v8
	v_max_num_f32_e32 v0, v0, v3
	ds_bpermute_b32 v3, v7, v0
	s_wait_dscnt 0x0
	v_max_num_f32_e32 v3, v3, v3
	s_delay_alu instid0(VALU_DEP_1) | instskip(SKIP_3) | instid1(VALU_DEP_1)
	v_max_num_f32_e32 v0, v0, v3
	ds_bpermute_b32 v3, v8, v0
	s_wait_dscnt 0x0
	v_dual_cndmask_b32 v9, v5, v9, vcc_lo :: v_dual_max_num_f32 v3, v3, v3
	v_dual_max_num_f32 v0, v0, v3 :: v_dual_lshlrev_b32 v9, 2, v9
	ds_bpermute_b32 v3, v9, v0
	s_wait_dscnt 0x0
	v_dual_max_num_f32 v3, v3, v3 :: v_dual_bitop2_b32 v10, 1, v5 bitop3:0x14
	s_delay_alu instid0(VALU_DEP_1) | instskip(NEXT) | instid1(VALU_DEP_2)
	v_cmp_gt_i32_e32 vcc_lo, 32, v10
	v_dual_max_num_f32 v0, v0, v3 :: v_dual_cndmask_b32 v5, v5, v10
	s_delay_alu instid0(VALU_DEP_1) | instskip(SKIP_3) | instid1(VALU_DEP_1)
	v_lshlrev_b32_e32 v5, 2, v5
	ds_bpermute_b32 v3, v5, v0
	s_wait_dscnt 0x0
	v_max_num_f32_e32 v3, v3, v3
	v_max_num_f32_e32 v0, v0, v3
	s_delay_alu instid0(VALU_DEP_1) | instskip(NEXT) | instid1(VALU_DEP_1)
	v_sub_f32_e32 v0, v6, v0
	v_mul_f32_e32 v3, 0x3fb8aa3b, v0
	s_delay_alu instid0(VALU_DEP_1) | instskip(SKIP_1) | instid1(VALU_DEP_1)
	v_fma_f32 v6, 0x3fb8aa3b, v0, -v3
	v_rndne_f32_e32 v10, v3
	v_dual_fmamk_f32 v6, v0, 0x32a5705f, v6 :: v_dual_sub_f32 v3, v3, v10
	s_delay_alu instid0(VALU_DEP_1) | instskip(SKIP_2) | instid1(VALU_DEP_3)
	v_add_f32_e32 v3, v3, v6
	v_cvt_i32_f32_e32 v6, v10
	v_cmp_ngt_f32_e32 vcc_lo, 0xc2ce8ed0, v0
	v_exp_f32_e32 v3, v3
	v_nop
	s_delay_alu instid0(TRANS32_DEP_1) | instskip(NEXT) | instid1(VALU_DEP_1)
	v_ldexp_f32 v3, v3, v6
	v_dual_mov_b32 v6, 0 :: v_dual_cndmask_b32 v3, 0, v3
	v_cmp_nlt_f32_e32 vcc_lo, 0x42b17218, v0
	s_delay_alu instid0(VALU_DEP_2) | instskip(NEXT) | instid1(VALU_DEP_1)
	v_cndmask_b32_e32 v0, 0x7f800000, v3, vcc_lo
	v_cndmask_b32_e64 v3, 0, v0, s1
	ds_bpermute_b32 v1, v1, v3
	s_wait_dscnt 0x0
	v_add_f32_e32 v1, v3, v1
	ds_bpermute_b32 v3, v7, v1
	s_wait_dscnt 0x0
	v_add_f32_e32 v1, v1, v3
	;; [unrolled: 3-line block ×4, first 2 shown]
	ds_bpermute_b32 v3, v5, v1
	s_and_saveexec_b32 s0, s1
	s_cbranch_execz .LBB11_45
; %bb.44:
	s_wait_dscnt 0x0
	v_add_f32_e32 v1, v1, v3
	s_delay_alu instid0(VALU_DEP_1) | instskip(NEXT) | instid1(VALU_DEP_1)
	v_div_scale_f32 v3, null, v1, v1, 1.0
	v_rcp_f32_e32 v5, v3
	v_nop
	s_delay_alu instid0(TRANS32_DEP_1) | instskip(NEXT) | instid1(VALU_DEP_1)
	v_fma_f32 v6, -v3, v5, 1.0
	v_fmac_f32_e32 v5, v6, v5
	v_div_scale_f32 v6, vcc_lo, 1.0, v1, 1.0
	s_delay_alu instid0(VALU_DEP_1) | instskip(NEXT) | instid1(VALU_DEP_1)
	v_mul_f32_e32 v7, v6, v5
	v_fma_f32 v8, -v3, v7, v6
	s_delay_alu instid0(VALU_DEP_1) | instskip(NEXT) | instid1(VALU_DEP_1)
	v_fmac_f32_e32 v7, v8, v5
	v_fma_f32 v3, -v3, v7, v6
	s_delay_alu instid0(VALU_DEP_1) | instskip(NEXT) | instid1(VALU_DEP_1)
	v_div_fmas_f32 v3, v3, v5, v7
	v_div_fixup_f32 v1, v3, v1, 1.0
	s_delay_alu instid0(VALU_DEP_1)
	v_mul_f32_e32 v6, v0, v1
.LBB11_45:
	s_or_b32 exec_lo, exec_lo, s0
	v_cmp_gt_i32_e32 vcc_lo, s5, v4
	s_and_b32 exec_lo, exec_lo, vcc_lo
	s_cbranch_execnz .LBB11_40
	s_branch .LBB11_41
	.section	.rodata,"a",@progbits
	.p2align	6, 0x0
	.amdhsa_kernel _Z13topk_moe_cudaILi1ELb0EEvPKfPfPiS2_iiff15topk_moe_config
		.amdhsa_group_segment_fixed_size 0
		.amdhsa_private_segment_fixed_size 0
		.amdhsa_kernarg_size 312
		.amdhsa_user_sgpr_count 2
		.amdhsa_user_sgpr_dispatch_ptr 0
		.amdhsa_user_sgpr_queue_ptr 0
		.amdhsa_user_sgpr_kernarg_segment_ptr 1
		.amdhsa_user_sgpr_dispatch_id 0
		.amdhsa_user_sgpr_kernarg_preload_length 0
		.amdhsa_user_sgpr_kernarg_preload_offset 0
		.amdhsa_user_sgpr_private_segment_size 0
		.amdhsa_wavefront_size32 1
		.amdhsa_uses_dynamic_stack 0
		.amdhsa_enable_private_segment 0
		.amdhsa_system_sgpr_workgroup_id_x 1
		.amdhsa_system_sgpr_workgroup_id_y 0
		.amdhsa_system_sgpr_workgroup_id_z 0
		.amdhsa_system_sgpr_workgroup_info 0
		.amdhsa_system_vgpr_workitem_id 1
		.amdhsa_next_free_vgpr 18
		.amdhsa_next_free_sgpr 12
		.amdhsa_named_barrier_count 0
		.amdhsa_reserve_vcc 1
		.amdhsa_float_round_mode_32 0
		.amdhsa_float_round_mode_16_64 0
		.amdhsa_float_denorm_mode_32 3
		.amdhsa_float_denorm_mode_16_64 3
		.amdhsa_fp16_overflow 0
		.amdhsa_memory_ordered 1
		.amdhsa_forward_progress 1
		.amdhsa_inst_pref_size 23
		.amdhsa_round_robin_scheduling 0
		.amdhsa_exception_fp_ieee_invalid_op 0
		.amdhsa_exception_fp_denorm_src 0
		.amdhsa_exception_fp_ieee_div_zero 0
		.amdhsa_exception_fp_ieee_overflow 0
		.amdhsa_exception_fp_ieee_underflow 0
		.amdhsa_exception_fp_ieee_inexact 0
		.amdhsa_exception_int_div_zero 0
	.end_amdhsa_kernel
	.section	.text._Z13topk_moe_cudaILi1ELb0EEvPKfPfPiS2_iiff15topk_moe_config,"axG",@progbits,_Z13topk_moe_cudaILi1ELb0EEvPKfPfPiS2_iiff15topk_moe_config,comdat
.Lfunc_end11:
	.size	_Z13topk_moe_cudaILi1ELb0EEvPKfPfPiS2_iiff15topk_moe_config, .Lfunc_end11-_Z13topk_moe_cudaILi1ELb0EEvPKfPfPiS2_iiff15topk_moe_config
                                        ; -- End function
	.set _Z13topk_moe_cudaILi1ELb0EEvPKfPfPiS2_iiff15topk_moe_config.num_vgpr, 18
	.set _Z13topk_moe_cudaILi1ELb0EEvPKfPfPiS2_iiff15topk_moe_config.num_agpr, 0
	.set _Z13topk_moe_cudaILi1ELb0EEvPKfPfPiS2_iiff15topk_moe_config.numbered_sgpr, 12
	.set _Z13topk_moe_cudaILi1ELb0EEvPKfPfPiS2_iiff15topk_moe_config.num_named_barrier, 0
	.set _Z13topk_moe_cudaILi1ELb0EEvPKfPfPiS2_iiff15topk_moe_config.private_seg_size, 0
	.set _Z13topk_moe_cudaILi1ELb0EEvPKfPfPiS2_iiff15topk_moe_config.uses_vcc, 1
	.set _Z13topk_moe_cudaILi1ELb0EEvPKfPfPiS2_iiff15topk_moe_config.uses_flat_scratch, 0
	.set _Z13topk_moe_cudaILi1ELb0EEvPKfPfPiS2_iiff15topk_moe_config.has_dyn_sized_stack, 0
	.set _Z13topk_moe_cudaILi1ELb0EEvPKfPfPiS2_iiff15topk_moe_config.has_recursion, 0
	.set _Z13topk_moe_cudaILi1ELb0EEvPKfPfPiS2_iiff15topk_moe_config.has_indirect_call, 0
	.section	.AMDGPU.csdata,"",@progbits
; Kernel info:
; codeLenInByte = 2932
; TotalNumSgprs: 14
; NumVgprs: 18
; ScratchSize: 0
; MemoryBound: 0
; FloatMode: 240
; IeeeMode: 1
; LDSByteSize: 0 bytes/workgroup (compile time only)
; SGPRBlocks: 0
; VGPRBlocks: 1
; NumSGPRsForWavesPerEU: 14
; NumVGPRsForWavesPerEU: 18
; NamedBarCnt: 0
; Occupancy: 16
; WaveLimiterHint : 0
; COMPUTE_PGM_RSRC2:SCRATCH_EN: 0
; COMPUTE_PGM_RSRC2:USER_SGPR: 2
; COMPUTE_PGM_RSRC2:TRAP_HANDLER: 0
; COMPUTE_PGM_RSRC2:TGID_X_EN: 1
; COMPUTE_PGM_RSRC2:TGID_Y_EN: 0
; COMPUTE_PGM_RSRC2:TGID_Z_EN: 0
; COMPUTE_PGM_RSRC2:TIDIG_COMP_CNT: 1
	.section	.text._Z13topk_moe_cudaILi2ELb0EEvPKfPfPiS2_iiff15topk_moe_config,"axG",@progbits,_Z13topk_moe_cudaILi2ELb0EEvPKfPfPiS2_iiff15topk_moe_config,comdat
	.protected	_Z13topk_moe_cudaILi2ELb0EEvPKfPfPiS2_iiff15topk_moe_config ; -- Begin function _Z13topk_moe_cudaILi2ELb0EEvPKfPfPiS2_iiff15topk_moe_config
	.globl	_Z13topk_moe_cudaILi2ELb0EEvPKfPfPiS2_iiff15topk_moe_config
	.p2align	8
	.type	_Z13topk_moe_cudaILi2ELb0EEvPKfPfPiS2_iiff15topk_moe_config,@function
_Z13topk_moe_cudaILi2ELb0EEvPKfPfPiS2_iiff15topk_moe_config: ; @_Z13topk_moe_cudaILi2ELb0EEvPKfPfPiS2_iiff15topk_moe_config
; %bb.0:
	s_clause 0x1
	s_load_u16 s2, s[0:1], 0x46
	s_load_b128 s[4:7], s[0:1], 0x20
	s_bfe_u32 s3, ttmp6, 0x4000c
	s_and_b32 s8, ttmp6, 15
	s_add_co_i32 s3, s3, 1
	v_bfe_u32 v1, v0, 10, 10
	s_mul_i32 s3, ttmp9, s3
	s_delay_alu instid0(SALU_CYCLE_1) | instskip(SKIP_1) | instid1(SALU_CYCLE_1)
	s_add_co_i32 s8, s8, s3
	s_getreg_b32 s3, hwreg(HW_REG_IB_STS2, 6, 4)
	s_cmp_eq_u32 s3, 0
	s_cselect_b32 s3, ttmp9, s8
	s_wait_kmcnt 0x0
	v_mad_u32 v4, s3, s2, v1
	s_mov_b32 s2, exec_lo
	s_delay_alu instid0(VALU_DEP_1)
	v_cmpx_gt_i32_e64 s4, v4
	s_cbranch_execz .LBB12_41
; %bb.1:
	v_dual_mov_b32 v1, 0 :: v_dual_lshlrev_b32 v2, 1, v4
	v_and_b32_e32 v5, 0x3ff, v0
	v_mov_b32_e32 v8, 0xff800000
	s_clause 0x1
	global_load_u16 v6, v1, s[0:1] offset:48
	global_load_i8 v7, v1, s[0:1] offset:50
	s_clause 0x1
	s_load_b128 s[8:11], s[0:1], 0x0
	s_load_b64 s[2:3], s[0:1], 0x10
	v_dual_ashrrev_i32 v3, 31, v2 :: v_dual_lshlrev_b32 v0, 2, v5
	s_wait_xcnt 0x0
	s_mov_b32 s0, exec_lo
	s_wait_loadcnt 0x1
	v_readfirstlane_b32 s1, v6
	v_cmpx_gt_u32_e32 2, v5
	s_cbranch_execz .LBB12_3
; %bb.2:
	s_wait_kmcnt 0x0
	v_lshl_add_u64 v[8:9], v[2:3], 2, s[8:9]
	s_delay_alu instid0(VALU_DEP_1)
	v_add_nc_u64_e32 v[8:9], v[8:9], v[0:1]
	global_load_b32 v8, v[8:9], off
.LBB12_3:
	s_wait_xcnt 0x0
	s_or_b32 exec_lo, exec_lo, s0
	s_wait_loadcnt 0x0
	v_and_b32_e32 v1, 1, v7
	s_delay_alu instid0(VALU_DEP_1)
	v_cmp_eq_u32_e64 s0, 1, v1
	s_and_b32 vcc_lo, exec_lo, s0
	s_cbranch_vccnz .LBB12_9
; %bb.4:
	v_and_b32_e32 v1, 1, v6
	s_mov_b32 s4, 0
	s_delay_alu instid0(VALU_DEP_1)
	v_cmp_eq_u32_e32 vcc_lo, 0, v1
	s_cbranch_vccz .LBB12_6
; %bb.5:
	v_mbcnt_lo_u32_b32 v1, -1, 0
	s_delay_alu instid0(VALU_DEP_1) | instskip(SKIP_3) | instid1(VALU_DEP_4)
	v_dual_max_num_f32 v7, v8, v8 :: v_dual_bitop2_b32 v6, 16, v1 bitop3:0x14
	v_xor_b32_e32 v12, 2, v1
	v_xor_b32_e32 v11, 4, v1
	;; [unrolled: 1-line block ×3, first 2 shown]
	v_max_num_f32_e32 v7, 0xff800000, v7
	v_cmp_gt_i32_e32 vcc_lo, 32, v6
	v_dual_cndmask_b32 v6, v1, v6, vcc_lo :: v_dual_bitop2_b32 v10, 8, v1 bitop3:0x14
	s_delay_alu instid0(VALU_DEP_1) | instskip(NEXT) | instid1(VALU_DEP_2)
	v_cmp_gt_i32_e32 vcc_lo, 32, v10
	v_lshlrev_b32_e32 v6, 2, v6
	ds_bpermute_b32 v9, v6, v7
	s_wait_dscnt 0x0
	v_max_num_f32_e32 v9, v9, v9
	v_cndmask_b32_e32 v10, v1, v10, vcc_lo
	v_cmp_gt_i32_e32 vcc_lo, 32, v11
	s_delay_alu instid0(VALU_DEP_2)
	v_dual_max_num_f32 v7, v7, v9 :: v_dual_lshlrev_b32 v10, 2, v10
	ds_bpermute_b32 v9, v10, v7
	s_wait_dscnt 0x0
	v_max_num_f32_e32 v9, v9, v9
	v_cndmask_b32_e32 v11, v1, v11, vcc_lo
	v_cmp_gt_i32_e32 vcc_lo, 32, v12
	s_delay_alu instid0(VALU_DEP_2) | instskip(SKIP_4) | instid1(VALU_DEP_1)
	v_dual_max_num_f32 v7, v7, v9 :: v_dual_lshlrev_b32 v11, 2, v11
	v_cndmask_b32_e32 v12, v1, v12, vcc_lo
	v_cmp_gt_i32_e32 vcc_lo, 32, v13
	ds_bpermute_b32 v9, v11, v7
	v_dual_cndmask_b32 v1, v1, v13 :: v_dual_lshlrev_b32 v12, 2, v12
	v_lshlrev_b32_e32 v1, 2, v1
	s_wait_dscnt 0x0
	v_max_num_f32_e32 v9, v9, v9
	s_delay_alu instid0(VALU_DEP_1) | instskip(SKIP_3) | instid1(VALU_DEP_1)
	v_max_num_f32_e32 v7, v7, v9
	ds_bpermute_b32 v9, v12, v7
	s_wait_dscnt 0x0
	v_max_num_f32_e32 v9, v9, v9
	v_max_num_f32_e32 v7, v7, v9
	ds_bpermute_b32 v9, v1, v7
	s_wait_dscnt 0x0
	v_max_num_f32_e32 v9, v9, v9
	s_delay_alu instid0(VALU_DEP_1) | instskip(NEXT) | instid1(VALU_DEP_1)
	v_max_num_f32_e32 v7, v7, v9
	v_sub_f32_e32 v7, v8, v7
	s_delay_alu instid0(VALU_DEP_1) | instskip(SKIP_1) | instid1(VALU_DEP_2)
	v_mul_f32_e32 v9, 0x3fb8aa3b, v7
	v_cmp_ngt_f32_e32 vcc_lo, 0xc2ce8ed0, v7
	v_fma_f32 v13, 0x3fb8aa3b, v7, -v9
	v_rndne_f32_e32 v14, v9
	s_delay_alu instid0(VALU_DEP_2) | instskip(NEXT) | instid1(VALU_DEP_2)
	v_fmamk_f32 v13, v7, 0x32a5705f, v13
	v_sub_f32_e32 v9, v9, v14
	s_delay_alu instid0(VALU_DEP_1) | instskip(SKIP_1) | instid1(VALU_DEP_2)
	v_add_f32_e32 v9, v9, v13
	v_cvt_i32_f32_e32 v13, v14
	v_exp_f32_e32 v9, v9
	v_nop
	s_delay_alu instid0(TRANS32_DEP_1) | instskip(NEXT) | instid1(VALU_DEP_1)
	v_ldexp_f32 v9, v9, v13
	v_cndmask_b32_e32 v9, 0, v9, vcc_lo
	v_cmp_nlt_f32_e32 vcc_lo, 0x42b17218, v7
	s_delay_alu instid0(VALU_DEP_2)
	v_cndmask_b32_e32 v7, 0x7f800000, v9, vcc_lo
	ds_bpermute_b32 v6, v6, v7
	s_wait_dscnt 0x0
	v_add_f32_e32 v6, v7, v6
	ds_bpermute_b32 v9, v10, v6
	s_wait_dscnt 0x0
	v_add_f32_e32 v6, v6, v9
	;; [unrolled: 3-line block ×5, first 2 shown]
	s_delay_alu instid0(VALU_DEP_1) | instskip(NEXT) | instid1(VALU_DEP_1)
	v_div_scale_f32 v6, null, v1, v1, 1.0
	v_rcp_f32_e32 v9, v6
	v_nop
	s_delay_alu instid0(TRANS32_DEP_1) | instskip(NEXT) | instid1(VALU_DEP_1)
	v_fma_f32 v10, -v6, v9, 1.0
	v_fmac_f32_e32 v9, v10, v9
	v_div_scale_f32 v10, vcc_lo, 1.0, v1, 1.0
	s_delay_alu instid0(VALU_DEP_1) | instskip(NEXT) | instid1(VALU_DEP_1)
	v_mul_f32_e32 v11, v10, v9
	v_fma_f32 v12, -v6, v11, v10
	s_delay_alu instid0(VALU_DEP_1) | instskip(NEXT) | instid1(VALU_DEP_1)
	v_fmac_f32_e32 v11, v12, v9
	v_fma_f32 v6, -v6, v11, v10
	s_delay_alu instid0(VALU_DEP_1) | instskip(NEXT) | instid1(VALU_DEP_1)
	v_div_fmas_f32 v6, v6, v9, v11
	v_div_fixup_f32 v1, v6, v1, 1.0
	s_delay_alu instid0(VALU_DEP_1)
	v_mul_f32_e32 v1, v7, v1
	s_and_not1_b32 vcc_lo, exec_lo, s4
	s_cbranch_vccz .LBB12_7
	s_branch .LBB12_8
.LBB12_6:
                                        ; implicit-def: $vgpr1
.LBB12_7:
	v_mul_f32_e32 v1, 0xbfb8aa3b, v8
	v_cmp_nlt_f32_e32 vcc_lo, 0x42ce8ed0, v8
	s_delay_alu instid0(VALU_DEP_2) | instskip(SKIP_1) | instid1(VALU_DEP_2)
	v_rndne_f32_e32 v6, v1
	v_fma_f32 v7, 0xbfb8aa3b, v8, -v1
	v_sub_f32_e32 v1, v1, v6
	s_delay_alu instid0(VALU_DEP_2) | instskip(SKIP_1) | instid1(VALU_DEP_2)
	v_fmamk_f32 v7, v8, 0xb2a5705f, v7
	v_cvt_i32_f32_e32 v6, v6
	v_add_f32_e32 v1, v1, v7
	s_delay_alu instid0(VALU_DEP_1) | instskip(SKIP_1) | instid1(TRANS32_DEP_1)
	v_exp_f32_e32 v1, v1
	v_nop
	v_ldexp_f32 v1, v1, v6
	s_delay_alu instid0(VALU_DEP_1) | instskip(SKIP_1) | instid1(VALU_DEP_2)
	v_cndmask_b32_e32 v1, 0, v1, vcc_lo
	v_cmp_ngt_f32_e32 vcc_lo, 0xc2b17218, v8
	v_cndmask_b32_e32 v1, 0x7f800000, v1, vcc_lo
	s_delay_alu instid0(VALU_DEP_1) | instskip(NEXT) | instid1(VALU_DEP_1)
	v_add_f32_e32 v1, 1.0, v1
	v_div_scale_f32 v6, null, v1, v1, 1.0
	s_delay_alu instid0(VALU_DEP_1) | instskip(SKIP_1) | instid1(TRANS32_DEP_1)
	v_rcp_f32_e32 v7, v6
	v_nop
	v_fma_f32 v8, -v6, v7, 1.0
	s_delay_alu instid0(VALU_DEP_1) | instskip(SKIP_1) | instid1(VALU_DEP_1)
	v_fmac_f32_e32 v7, v8, v7
	v_div_scale_f32 v8, vcc_lo, 1.0, v1, 1.0
	v_mul_f32_e32 v9, v8, v7
	s_delay_alu instid0(VALU_DEP_1) | instskip(NEXT) | instid1(VALU_DEP_1)
	v_fma_f32 v10, -v6, v9, v8
	v_fmac_f32_e32 v9, v10, v7
	s_delay_alu instid0(VALU_DEP_1) | instskip(NEXT) | instid1(VALU_DEP_1)
	v_fma_f32 v6, -v6, v9, v8
	v_div_fmas_f32 v6, v6, v7, v9
	s_delay_alu instid0(VALU_DEP_1)
	v_div_fixup_f32 v1, v6, v1, 1.0
.LBB12_8:
	s_delay_alu instid0(VALU_DEP_1)
	v_mov_b32_e32 v8, v1
.LBB12_9:
	s_lshr_b32 s1, s1, 8
	s_cmp_gt_i32 s5, 0
	s_wait_kmcnt 0x0
	s_mov_b32 s8, 0
	s_cbranch_scc1 .LBB12_11
; %bb.10:
	s_bitcmp1_b32 s1, 0
	s_cselect_b32 s4, -1, 0
	s_branch .LBB12_12
.LBB12_11:
	s_mov_b32 s8, -1
                                        ; implicit-def: $sgpr4
.LBB12_12:
	v_dual_mov_b32 v7, 0 :: v_dual_mov_b32 v6, 0
	v_mbcnt_lo_u32_b32 v1, -1, 0
	s_and_not1_b32 vcc_lo, exec_lo, s8
	s_cbranch_vccnz .LBB12_37
; %bb.13:
	v_cmp_o_f32_e32 vcc_lo, v8, v8
	s_delay_alu instid0(VALU_DEP_2)
	v_xor_b32_e32 v7, 8, v1
	v_xor_b32_e32 v6, 16, v1
	v_lshl_add_u64 v[2:3], v[2:3], 2, s[2:3]
	s_bitcmp1_b32 s1, 0
	v_cndmask_b32_e32 v8, 0xff7fffff, v8, vcc_lo
	s_mov_b32 s2, 0
	v_cmp_gt_i32_e32 vcc_lo, 32, v6
	s_cselect_b32 s4, -1, 0
	v_cndmask_b32_e32 v6, v1, v6, vcc_lo
	v_cmp_gt_i32_e32 vcc_lo, 32, v7
	v_dual_cndmask_b32 v7, v1, v7, vcc_lo :: v_dual_bitop2_b32 v11, 1, v1 bitop3:0x14
	v_xor_b32_e32 v10, 2, v1
	v_xor_b32_e32 v9, 4, v1
	s_delay_alu instid0(VALU_DEP_1) | instskip(SKIP_1) | instid1(VALU_DEP_4)
	v_cmp_gt_i32_e32 vcc_lo, 32, v9
	v_cndmask_b32_e32 v12, v1, v9, vcc_lo
	v_cmp_gt_i32_e32 vcc_lo, 32, v10
	v_dual_mov_b32 v6, 0 :: v_dual_lshlrev_b32 v9, 2, v6
	v_dual_cndmask_b32 v13, v1, v10 :: v_dual_lshlrev_b32 v10, 2, v7
	v_cmp_gt_i32_e32 vcc_lo, 32, v11
	v_dual_mov_b32 v7, 0 :: v_dual_cndmask_b32 v14, v1, v11
	s_delay_alu instid0(VALU_DEP_3) | instskip(NEXT) | instid1(VALU_DEP_2)
	v_dual_lshlrev_b32 v11, 2, v12 :: v_dual_lshlrev_b32 v12, 2, v13
	v_lshlrev_b32_e32 v13, 2, v14
	s_branch .LBB12_15
.LBB12_14:                              ;   in Loop: Header=BB12_15 Depth=1
	s_wait_xcnt 0x0
	s_or_b32 exec_lo, exec_lo, s1
	s_and_b32 s1, s2, 31
	v_cndmask_b32_e64 v8, v8, 0xff800000, vcc_lo
	v_cmp_eq_u32_e32 vcc_lo, s1, v5
	v_add_nc_u64_e32 v[2:3], 4, v[2:3]
	s_add_co_i32 s2, s2, 1
	s_delay_alu instid0(SALU_CYCLE_1)
	s_cmp_eq_u32 s5, s2
	v_cndmask_b32_e32 v6, v6, v14, vcc_lo
	s_cbranch_scc1 .LBB12_37
.LBB12_15:                              ; =>This Inner Loop Header: Depth=1
	s_wait_dscnt 0x0
	ds_bpermute_b32 v17, v9, v8
	ds_bpermute_b32 v18, v9, v5
	s_mov_b32 s8, exec_lo
	s_wait_dscnt 0x1
	v_cmp_lt_f32_e64 s3, v8, v17
	v_cmpx_nlt_f32_e32 v8, v17
	s_cbranch_execz .LBB12_17
; %bb.16:                               ;   in Loop: Header=BB12_15 Depth=1
	v_cmp_eq_f32_e32 vcc_lo, v8, v17
	s_wait_dscnt 0x0
	v_cmp_lt_i32_e64 s1, v18, v5
	s_and_not1_b32 s3, s3, exec_lo
	s_and_b32 s1, vcc_lo, s1
	s_delay_alu instid0(SALU_CYCLE_1) | instskip(NEXT) | instid1(SALU_CYCLE_1)
	s_and_b32 s1, s1, exec_lo
	s_or_b32 s3, s3, s1
.LBB12_17:                              ;   in Loop: Header=BB12_15 Depth=1
	s_or_b32 exec_lo, exec_lo, s8
	v_dual_mov_b32 v16, v8 :: v_dual_mov_b32 v14, v8
	v_mov_b32_e32 v15, v5
	s_and_saveexec_b32 s1, s3
	s_cbranch_execz .LBB12_19
; %bb.18:                               ;   in Loop: Header=BB12_15 Depth=1
	v_dual_mov_b32 v16, v17 :: v_dual_mov_b32 v14, v17
	s_wait_dscnt 0x0
	v_mov_b32_e32 v15, v18
.LBB12_19:                              ;   in Loop: Header=BB12_15 Depth=1
	s_or_b32 exec_lo, exec_lo, s1
	ds_bpermute_b32 v17, v10, v16
	s_wait_dscnt 0x1
	ds_bpermute_b32 v18, v10, v15
	s_mov_b32 s8, exec_lo
	s_wait_dscnt 0x1
	v_cmp_lt_f32_e64 s3, v14, v17
	v_cmpx_nlt_f32_e32 v14, v17
	s_cbranch_execz .LBB12_21
; %bb.20:                               ;   in Loop: Header=BB12_15 Depth=1
	v_cmp_eq_f32_e32 vcc_lo, v14, v17
	s_wait_dscnt 0x0
	v_cmp_lt_i32_e64 s1, v18, v15
	s_and_not1_b32 s3, s3, exec_lo
	s_and_b32 s1, vcc_lo, s1
	s_delay_alu instid0(SALU_CYCLE_1) | instskip(NEXT) | instid1(SALU_CYCLE_1)
	s_and_b32 s1, s1, exec_lo
	s_or_b32 s3, s3, s1
.LBB12_21:                              ;   in Loop: Header=BB12_15 Depth=1
	s_or_b32 exec_lo, exec_lo, s8
	s_and_saveexec_b32 s1, s3
	s_cbranch_execz .LBB12_23
; %bb.22:                               ;   in Loop: Header=BB12_15 Depth=1
	v_dual_mov_b32 v16, v17 :: v_dual_mov_b32 v14, v17
	s_wait_dscnt 0x0
	v_mov_b32_e32 v15, v18
.LBB12_23:                              ;   in Loop: Header=BB12_15 Depth=1
	s_or_b32 exec_lo, exec_lo, s1
	ds_bpermute_b32 v17, v11, v16
	s_wait_dscnt 0x1
	ds_bpermute_b32 v18, v11, v15
	s_mov_b32 s8, exec_lo
	s_wait_dscnt 0x1
	v_cmp_lt_f32_e64 s3, v14, v17
	v_cmpx_nlt_f32_e32 v14, v17
	s_cbranch_execz .LBB12_25
; %bb.24:                               ;   in Loop: Header=BB12_15 Depth=1
	v_cmp_eq_f32_e32 vcc_lo, v14, v17
	s_wait_dscnt 0x0
	v_cmp_lt_i32_e64 s1, v18, v15
	s_and_not1_b32 s3, s3, exec_lo
	s_and_b32 s1, vcc_lo, s1
	s_delay_alu instid0(SALU_CYCLE_1) | instskip(NEXT) | instid1(SALU_CYCLE_1)
	s_and_b32 s1, s1, exec_lo
	s_or_b32 s3, s3, s1
.LBB12_25:                              ;   in Loop: Header=BB12_15 Depth=1
	s_or_b32 exec_lo, exec_lo, s8
	;; [unrolled: 27-line block ×3, first 2 shown]
	s_and_saveexec_b32 s1, s3
	s_cbranch_execz .LBB12_31
; %bb.30:                               ;   in Loop: Header=BB12_15 Depth=1
	v_dual_mov_b32 v16, v17 :: v_dual_mov_b32 v14, v17
	s_wait_dscnt 0x0
	v_mov_b32_e32 v15, v18
.LBB12_31:                              ;   in Loop: Header=BB12_15 Depth=1
	s_or_b32 exec_lo, exec_lo, s1
	ds_bpermute_b32 v16, v13, v16
	ds_bpermute_b32 v17, v13, v15
	s_mov_b32 s8, exec_lo
	s_wait_dscnt 0x1
	v_cmp_lt_f32_e64 s3, v14, v16
	v_cmpx_nlt_f32_e32 v14, v16
	s_cbranch_execz .LBB12_33
; %bb.32:                               ;   in Loop: Header=BB12_15 Depth=1
	v_cmp_eq_f32_e32 vcc_lo, v14, v16
	s_wait_dscnt 0x0
	v_cmp_lt_i32_e64 s1, v17, v15
	s_and_not1_b32 s3, s3, exec_lo
	s_and_b32 s1, vcc_lo, s1
	s_delay_alu instid0(SALU_CYCLE_1) | instskip(NEXT) | instid1(SALU_CYCLE_1)
	s_and_b32 s1, s1, exec_lo
	s_or_b32 s3, s3, s1
.LBB12_33:                              ;   in Loop: Header=BB12_15 Depth=1
	s_or_b32 exec_lo, exec_lo, s8
	s_and_saveexec_b32 s1, s3
	s_cbranch_execz .LBB12_35
; %bb.34:                               ;   in Loop: Header=BB12_15 Depth=1
	s_wait_dscnt 0x0
	v_dual_mov_b32 v14, v16 :: v_dual_mov_b32 v15, v17
.LBB12_35:                              ;   in Loop: Header=BB12_15 Depth=1
	s_or_b32 exec_lo, exec_lo, s1
	s_delay_alu instid0(VALU_DEP_1) | instskip(NEXT) | instid1(VALU_DEP_1)
	v_and_b32_e32 v16, 31, v15
	v_cmp_eq_u32_e32 vcc_lo, v16, v5
	s_and_saveexec_b32 s1, vcc_lo
	s_cbranch_execz .LBB12_14
; %bb.36:                               ;   in Loop: Header=BB12_15 Depth=1
	v_add_f32_e32 v16, v7, v14
	global_store_b32 v[2:3], v15, off
	v_cndmask_b32_e64 v7, v7, v16, s4
	s_branch .LBB12_14
.LBB12_37:
	s_and_b32 vcc_lo, exec_lo, s4
	s_cbranch_vccnz .LBB12_42
; %bb.38:
	v_cmp_gt_i32_e64 s1, s5, v5
	s_and_not1_b32 vcc_lo, exec_lo, s0
	s_cbranch_vccz .LBB12_43
.LBB12_39:
	v_cmp_gt_i32_e32 vcc_lo, s5, v5
	s_and_b32 exec_lo, exec_lo, vcc_lo
	s_cbranch_execz .LBB12_41
.LBB12_40:
	v_mul_lo_u32 v2, v4, s5
	s_wait_dscnt 0x0
	s_delay_alu instid0(VALU_DEP_1) | instskip(NEXT) | instid1(VALU_DEP_1)
	v_dual_mov_b32 v1, 0 :: v_dual_ashrrev_i32 v3, 31, v2
	v_lshl_add_u64 v[2:3], v[2:3], 2, s[10:11]
	s_delay_alu instid0(VALU_DEP_1)
	v_add_nc_u64_e32 v[0:1], v[2:3], v[0:1]
	v_mul_f32_e32 v2, s7, v6
	global_store_b32 v[0:1], v2, off
.LBB12_41:
	s_endpgm
.LBB12_42:
	v_xor_b32_e32 v3, 8, v1
	v_xor_b32_e32 v2, 16, v1
	s_delay_alu instid0(VALU_DEP_1) | instskip(SKIP_1) | instid1(VALU_DEP_4)
	v_cmp_gt_i32_e32 vcc_lo, 32, v2
	v_cndmask_b32_e32 v2, v1, v2, vcc_lo
	v_cmp_gt_i32_e32 vcc_lo, 32, v3
	v_cndmask_b32_e32 v3, v1, v3, vcc_lo
	s_delay_alu instid0(VALU_DEP_1)
	v_dual_lshlrev_b32 v3, 2, v3 :: v_dual_lshlrev_b32 v2, 2, v2
	ds_bpermute_b32 v2, v2, v7
	s_wait_dscnt 0x0
	v_dual_add_f32 v2, v7, v2 :: v_dual_bitop2_b32 v7, 4, v1 bitop3:0x14
	ds_bpermute_b32 v3, v3, v2
	v_cmp_gt_i32_e32 vcc_lo, 32, v7
	v_cndmask_b32_e32 v7, v1, v7, vcc_lo
	s_delay_alu instid0(VALU_DEP_1) | instskip(SKIP_4) | instid1(VALU_DEP_1)
	v_lshlrev_b32_e32 v7, 2, v7
	s_wait_dscnt 0x0
	v_add_f32_e32 v2, v2, v3
	ds_bpermute_b32 v3, v7, v2
	v_xor_b32_e32 v7, 2, v1
	v_cmp_gt_i32_e32 vcc_lo, 32, v7
	v_cndmask_b32_e32 v7, v1, v7, vcc_lo
	s_delay_alu instid0(VALU_DEP_1) | instskip(SKIP_4) | instid1(VALU_DEP_1)
	v_lshlrev_b32_e32 v7, 2, v7
	s_wait_dscnt 0x0
	v_add_f32_e32 v2, v2, v3
	ds_bpermute_b32 v3, v7, v2
	v_xor_b32_e32 v7, 1, v1
	v_cmp_gt_i32_e32 vcc_lo, 32, v7
	v_cndmask_b32_e32 v7, v1, v7, vcc_lo
	s_delay_alu instid0(VALU_DEP_1)
	v_lshlrev_b32_e32 v7, 2, v7
	s_wait_dscnt 0x0
	v_add_f32_e32 v2, v2, v3
	ds_bpermute_b32 v3, v7, v2
	v_max_num_f32_e64 v7, s6, s6
	s_wait_dscnt 0x0
	v_add_f32_e32 v2, v2, v3
	s_delay_alu instid0(VALU_DEP_1) | instskip(NEXT) | instid1(VALU_DEP_1)
	v_max_num_f32_e32 v2, v2, v7
	v_div_scale_f32 v3, null, v2, v2, 1.0
	s_delay_alu instid0(VALU_DEP_1) | instskip(SKIP_1) | instid1(TRANS32_DEP_1)
	v_rcp_f32_e32 v7, v3
	v_nop
	v_fma_f32 v8, -v3, v7, 1.0
	s_delay_alu instid0(VALU_DEP_1) | instskip(SKIP_1) | instid1(VALU_DEP_1)
	v_fmac_f32_e32 v7, v8, v7
	v_div_scale_f32 v8, vcc_lo, 1.0, v2, 1.0
	v_mul_f32_e32 v9, v8, v7
	s_delay_alu instid0(VALU_DEP_1) | instskip(NEXT) | instid1(VALU_DEP_1)
	v_fma_f32 v10, -v3, v9, v8
	v_fmac_f32_e32 v9, v10, v7
	s_delay_alu instid0(VALU_DEP_1) | instskip(NEXT) | instid1(VALU_DEP_1)
	v_fma_f32 v3, -v3, v9, v8
	v_div_fmas_f32 v3, v3, v7, v9
	s_delay_alu instid0(VALU_DEP_1) | instskip(NEXT) | instid1(VALU_DEP_1)
	v_div_fixup_f32 v2, v3, v2, 1.0
	v_mul_f32_e32 v6, v2, v6
	v_cmp_gt_i32_e64 s1, s5, v5
	s_and_not1_b32 vcc_lo, exec_lo, s0
	s_cbranch_vccnz .LBB12_39
.LBB12_43:
	v_dual_max_num_f32 v2, v6, v6 :: v_dual_bitop2_b32 v3, 16, v1 bitop3:0x14
	v_xor_b32_e32 v10, 2, v1
	v_xor_b32_e32 v8, 8, v1
	s_delay_alu instid0(VALU_DEP_3) | instskip(NEXT) | instid1(VALU_DEP_4)
	v_cmp_gt_i32_e32 vcc_lo, 32, v3
	v_dual_max_num_f32 v2, 0xff800000, v2 :: v_dual_cndmask_b32 v3, v1, v3
	s_delay_alu instid0(VALU_DEP_1) | instskip(NEXT) | instid1(VALU_DEP_4)
	v_cndmask_b32_e64 v2, 0xff800000, v2, s1
	v_cmp_gt_i32_e32 vcc_lo, 32, v8
	s_delay_alu instid0(VALU_DEP_3) | instskip(SKIP_3) | instid1(VALU_DEP_1)
	v_lshlrev_b32_e32 v3, 2, v3
	ds_bpermute_b32 v7, v3, v2
	s_wait_dscnt 0x0
	v_dual_cndmask_b32 v8, v1, v8 :: v_dual_max_num_f32 v7, v7, v7
	v_dual_lshlrev_b32 v8, 2, v8 :: v_dual_max_num_f32 v2, v2, v7
	ds_bpermute_b32 v7, v8, v2
	s_wait_dscnt 0x0
	v_dual_max_num_f32 v7, v7, v7 :: v_dual_bitop2_b32 v9, 4, v1 bitop3:0x14
	s_delay_alu instid0(VALU_DEP_1) | instskip(NEXT) | instid1(VALU_DEP_2)
	v_cmp_gt_i32_e32 vcc_lo, 32, v9
	v_dual_max_num_f32 v2, v2, v7 :: v_dual_cndmask_b32 v9, v1, v9
	v_cmp_gt_i32_e32 vcc_lo, 32, v10
	s_delay_alu instid0(VALU_DEP_2) | instskip(SKIP_3) | instid1(VALU_DEP_1)
	v_dual_cndmask_b32 v10, v1, v10 :: v_dual_lshlrev_b32 v9, 2, v9
	ds_bpermute_b32 v7, v9, v2
	s_wait_dscnt 0x0
	v_dual_max_num_f32 v7, v7, v7 :: v_dual_lshlrev_b32 v10, 2, v10
	v_max_num_f32_e32 v2, v2, v7
	ds_bpermute_b32 v7, v10, v2
	s_wait_dscnt 0x0
	v_dual_max_num_f32 v7, v7, v7 :: v_dual_bitop2_b32 v11, 1, v1 bitop3:0x14
	s_delay_alu instid0(VALU_DEP_1) | instskip(SKIP_1) | instid1(VALU_DEP_1)
	v_cmp_gt_i32_e32 vcc_lo, 32, v11
	v_cndmask_b32_e32 v1, v1, v11, vcc_lo
	v_dual_lshlrev_b32 v11, 2, v1 :: v_dual_max_num_f32 v1, v2, v7
	ds_bpermute_b32 v2, v11, v1
	s_wait_dscnt 0x0
	v_max_num_f32_e32 v2, v2, v2
	s_delay_alu instid0(VALU_DEP_1) | instskip(NEXT) | instid1(VALU_DEP_1)
	v_max_num_f32_e32 v1, v1, v2
	v_sub_f32_e32 v1, v6, v1
	s_delay_alu instid0(VALU_DEP_1) | instskip(SKIP_1) | instid1(VALU_DEP_2)
	v_mul_f32_e32 v2, 0x3fb8aa3b, v1
	v_cmp_ngt_f32_e32 vcc_lo, 0xc2ce8ed0, v1
	v_fma_f32 v6, 0x3fb8aa3b, v1, -v2
	v_rndne_f32_e32 v7, v2
	s_delay_alu instid0(VALU_DEP_2) | instskip(NEXT) | instid1(VALU_DEP_2)
	v_fmamk_f32 v6, v1, 0x32a5705f, v6
	v_sub_f32_e32 v2, v2, v7
	s_delay_alu instid0(VALU_DEP_1) | instskip(SKIP_1) | instid1(VALU_DEP_2)
	v_add_f32_e32 v2, v2, v6
	v_cvt_i32_f32_e32 v6, v7
	v_exp_f32_e32 v2, v2
	v_nop
	s_delay_alu instid0(TRANS32_DEP_1) | instskip(NEXT) | instid1(VALU_DEP_1)
	v_ldexp_f32 v2, v2, v6
	v_dual_mov_b32 v6, 0 :: v_dual_cndmask_b32 v2, 0, v2, vcc_lo
	v_cmp_nlt_f32_e32 vcc_lo, 0x42b17218, v1
	s_delay_alu instid0(VALU_DEP_2) | instskip(NEXT) | instid1(VALU_DEP_1)
	v_cndmask_b32_e32 v1, 0x7f800000, v2, vcc_lo
	v_cndmask_b32_e64 v2, 0, v1, s1
	ds_bpermute_b32 v3, v3, v2
	s_wait_dscnt 0x0
	v_add_f32_e32 v2, v2, v3
	ds_bpermute_b32 v3, v8, v2
	s_wait_dscnt 0x0
	v_add_f32_e32 v2, v2, v3
	;; [unrolled: 3-line block ×4, first 2 shown]
	ds_bpermute_b32 v3, v11, v2
	s_and_saveexec_b32 s0, s1
	s_cbranch_execz .LBB12_45
; %bb.44:
	s_wait_dscnt 0x0
	v_add_f32_e32 v2, v2, v3
	s_delay_alu instid0(VALU_DEP_1) | instskip(NEXT) | instid1(VALU_DEP_1)
	v_div_scale_f32 v3, null, v2, v2, 1.0
	v_rcp_f32_e32 v6, v3
	v_nop
	s_delay_alu instid0(TRANS32_DEP_1) | instskip(NEXT) | instid1(VALU_DEP_1)
	v_fma_f32 v7, -v3, v6, 1.0
	v_fmac_f32_e32 v6, v7, v6
	v_div_scale_f32 v7, vcc_lo, 1.0, v2, 1.0
	s_delay_alu instid0(VALU_DEP_1) | instskip(NEXT) | instid1(VALU_DEP_1)
	v_mul_f32_e32 v8, v7, v6
	v_fma_f32 v9, -v3, v8, v7
	s_delay_alu instid0(VALU_DEP_1) | instskip(NEXT) | instid1(VALU_DEP_1)
	v_fmac_f32_e32 v8, v9, v6
	v_fma_f32 v3, -v3, v8, v7
	s_delay_alu instid0(VALU_DEP_1) | instskip(NEXT) | instid1(VALU_DEP_1)
	v_div_fmas_f32 v3, v3, v6, v8
	v_div_fixup_f32 v2, v3, v2, 1.0
	s_delay_alu instid0(VALU_DEP_1)
	v_mul_f32_e32 v6, v1, v2
.LBB12_45:
	s_or_b32 exec_lo, exec_lo, s0
	v_cmp_gt_i32_e32 vcc_lo, s5, v5
	s_and_b32 exec_lo, exec_lo, vcc_lo
	s_cbranch_execnz .LBB12_40
	s_branch .LBB12_41
	.section	.rodata,"a",@progbits
	.p2align	6, 0x0
	.amdhsa_kernel _Z13topk_moe_cudaILi2ELb0EEvPKfPfPiS2_iiff15topk_moe_config
		.amdhsa_group_segment_fixed_size 0
		.amdhsa_private_segment_fixed_size 0
		.amdhsa_kernarg_size 312
		.amdhsa_user_sgpr_count 2
		.amdhsa_user_sgpr_dispatch_ptr 0
		.amdhsa_user_sgpr_queue_ptr 0
		.amdhsa_user_sgpr_kernarg_segment_ptr 1
		.amdhsa_user_sgpr_dispatch_id 0
		.amdhsa_user_sgpr_kernarg_preload_length 0
		.amdhsa_user_sgpr_kernarg_preload_offset 0
		.amdhsa_user_sgpr_private_segment_size 0
		.amdhsa_wavefront_size32 1
		.amdhsa_uses_dynamic_stack 0
		.amdhsa_enable_private_segment 0
		.amdhsa_system_sgpr_workgroup_id_x 1
		.amdhsa_system_sgpr_workgroup_id_y 0
		.amdhsa_system_sgpr_workgroup_id_z 0
		.amdhsa_system_sgpr_workgroup_info 0
		.amdhsa_system_vgpr_workitem_id 1
		.amdhsa_next_free_vgpr 19
		.amdhsa_next_free_sgpr 12
		.amdhsa_named_barrier_count 0
		.amdhsa_reserve_vcc 1
		.amdhsa_float_round_mode_32 0
		.amdhsa_float_round_mode_16_64 0
		.amdhsa_float_denorm_mode_32 3
		.amdhsa_float_denorm_mode_16_64 3
		.amdhsa_fp16_overflow 0
		.amdhsa_memory_ordered 1
		.amdhsa_forward_progress 1
		.amdhsa_inst_pref_size 24
		.amdhsa_round_robin_scheduling 0
		.amdhsa_exception_fp_ieee_invalid_op 0
		.amdhsa_exception_fp_denorm_src 0
		.amdhsa_exception_fp_ieee_div_zero 0
		.amdhsa_exception_fp_ieee_overflow 0
		.amdhsa_exception_fp_ieee_underflow 0
		.amdhsa_exception_fp_ieee_inexact 0
		.amdhsa_exception_int_div_zero 0
	.end_amdhsa_kernel
	.section	.text._Z13topk_moe_cudaILi2ELb0EEvPKfPfPiS2_iiff15topk_moe_config,"axG",@progbits,_Z13topk_moe_cudaILi2ELb0EEvPKfPfPiS2_iiff15topk_moe_config,comdat
.Lfunc_end12:
	.size	_Z13topk_moe_cudaILi2ELb0EEvPKfPfPiS2_iiff15topk_moe_config, .Lfunc_end12-_Z13topk_moe_cudaILi2ELb0EEvPKfPfPiS2_iiff15topk_moe_config
                                        ; -- End function
	.set _Z13topk_moe_cudaILi2ELb0EEvPKfPfPiS2_iiff15topk_moe_config.num_vgpr, 19
	.set _Z13topk_moe_cudaILi2ELb0EEvPKfPfPiS2_iiff15topk_moe_config.num_agpr, 0
	.set _Z13topk_moe_cudaILi2ELb0EEvPKfPfPiS2_iiff15topk_moe_config.numbered_sgpr, 12
	.set _Z13topk_moe_cudaILi2ELb0EEvPKfPfPiS2_iiff15topk_moe_config.num_named_barrier, 0
	.set _Z13topk_moe_cudaILi2ELb0EEvPKfPfPiS2_iiff15topk_moe_config.private_seg_size, 0
	.set _Z13topk_moe_cudaILi2ELb0EEvPKfPfPiS2_iiff15topk_moe_config.uses_vcc, 1
	.set _Z13topk_moe_cudaILi2ELb0EEvPKfPfPiS2_iiff15topk_moe_config.uses_flat_scratch, 0
	.set _Z13topk_moe_cudaILi2ELb0EEvPKfPfPiS2_iiff15topk_moe_config.has_dyn_sized_stack, 0
	.set _Z13topk_moe_cudaILi2ELb0EEvPKfPfPiS2_iiff15topk_moe_config.has_recursion, 0
	.set _Z13topk_moe_cudaILi2ELb0EEvPKfPfPiS2_iiff15topk_moe_config.has_indirect_call, 0
	.section	.AMDGPU.csdata,"",@progbits
; Kernel info:
; codeLenInByte = 2956
; TotalNumSgprs: 14
; NumVgprs: 19
; ScratchSize: 0
; MemoryBound: 0
; FloatMode: 240
; IeeeMode: 1
; LDSByteSize: 0 bytes/workgroup (compile time only)
; SGPRBlocks: 0
; VGPRBlocks: 1
; NumSGPRsForWavesPerEU: 14
; NumVGPRsForWavesPerEU: 19
; NamedBarCnt: 0
; Occupancy: 16
; WaveLimiterHint : 0
; COMPUTE_PGM_RSRC2:SCRATCH_EN: 0
; COMPUTE_PGM_RSRC2:USER_SGPR: 2
; COMPUTE_PGM_RSRC2:TRAP_HANDLER: 0
; COMPUTE_PGM_RSRC2:TGID_X_EN: 1
; COMPUTE_PGM_RSRC2:TGID_Y_EN: 0
; COMPUTE_PGM_RSRC2:TGID_Z_EN: 0
; COMPUTE_PGM_RSRC2:TIDIG_COMP_CNT: 1
	.section	.text._Z13topk_moe_cudaILi4ELb0EEvPKfPfPiS2_iiff15topk_moe_config,"axG",@progbits,_Z13topk_moe_cudaILi4ELb0EEvPKfPfPiS2_iiff15topk_moe_config,comdat
	.protected	_Z13topk_moe_cudaILi4ELb0EEvPKfPfPiS2_iiff15topk_moe_config ; -- Begin function _Z13topk_moe_cudaILi4ELb0EEvPKfPfPiS2_iiff15topk_moe_config
	.globl	_Z13topk_moe_cudaILi4ELb0EEvPKfPfPiS2_iiff15topk_moe_config
	.p2align	8
	.type	_Z13topk_moe_cudaILi4ELb0EEvPKfPfPiS2_iiff15topk_moe_config,@function
_Z13topk_moe_cudaILi4ELb0EEvPKfPfPiS2_iiff15topk_moe_config: ; @_Z13topk_moe_cudaILi4ELb0EEvPKfPfPiS2_iiff15topk_moe_config
; %bb.0:
	s_clause 0x1
	s_load_u16 s2, s[0:1], 0x46
	s_load_b128 s[4:7], s[0:1], 0x20
	s_bfe_u32 s3, ttmp6, 0x4000c
	s_and_b32 s8, ttmp6, 15
	s_add_co_i32 s3, s3, 1
	v_bfe_u32 v1, v0, 10, 10
	s_mul_i32 s3, ttmp9, s3
	s_delay_alu instid0(SALU_CYCLE_1) | instskip(SKIP_1) | instid1(SALU_CYCLE_1)
	s_add_co_i32 s8, s8, s3
	s_getreg_b32 s3, hwreg(HW_REG_IB_STS2, 6, 4)
	s_cmp_eq_u32 s3, 0
	s_cselect_b32 s3, ttmp9, s8
	s_wait_kmcnt 0x0
	v_mad_u32 v4, s3, s2, v1
	s_mov_b32 s2, exec_lo
	s_delay_alu instid0(VALU_DEP_1)
	v_cmpx_gt_i32_e64 s4, v4
	s_cbranch_execz .LBB13_41
; %bb.1:
	v_dual_mov_b32 v1, 0 :: v_dual_lshlrev_b32 v2, 2, v4
	v_and_b32_e32 v5, 0x3ff, v0
	v_mov_b32_e32 v8, 0xff800000
	s_clause 0x1
	global_load_u16 v6, v1, s[0:1] offset:48
	global_load_i8 v7, v1, s[0:1] offset:50
	s_clause 0x1
	s_load_b128 s[8:11], s[0:1], 0x0
	s_load_b64 s[2:3], s[0:1], 0x10
	v_dual_ashrrev_i32 v3, 31, v2 :: v_dual_lshlrev_b32 v0, 2, v5
	s_wait_xcnt 0x0
	s_mov_b32 s0, exec_lo
	s_wait_loadcnt 0x1
	v_readfirstlane_b32 s1, v6
	v_cmpx_gt_u32_e32 4, v5
	s_cbranch_execz .LBB13_3
; %bb.2:
	s_wait_kmcnt 0x0
	v_lshl_add_u64 v[8:9], v[2:3], 2, s[8:9]
	s_delay_alu instid0(VALU_DEP_1)
	v_add_nc_u64_e32 v[8:9], v[8:9], v[0:1]
	global_load_b32 v8, v[8:9], off
.LBB13_3:
	s_wait_xcnt 0x0
	s_or_b32 exec_lo, exec_lo, s0
	s_wait_loadcnt 0x0
	v_and_b32_e32 v1, 1, v7
	s_delay_alu instid0(VALU_DEP_1)
	v_cmp_eq_u32_e64 s0, 1, v1
	s_and_b32 vcc_lo, exec_lo, s0
	s_cbranch_vccnz .LBB13_9
; %bb.4:
	v_and_b32_e32 v1, 1, v6
	s_mov_b32 s4, 0
	s_delay_alu instid0(VALU_DEP_1)
	v_cmp_eq_u32_e32 vcc_lo, 0, v1
	s_cbranch_vccz .LBB13_6
; %bb.5:
	v_mbcnt_lo_u32_b32 v1, -1, 0
	s_delay_alu instid0(VALU_DEP_1) | instskip(SKIP_3) | instid1(VALU_DEP_4)
	v_dual_max_num_f32 v7, v8, v8 :: v_dual_bitop2_b32 v6, 16, v1 bitop3:0x14
	v_xor_b32_e32 v12, 2, v1
	v_xor_b32_e32 v11, 4, v1
	;; [unrolled: 1-line block ×3, first 2 shown]
	v_max_num_f32_e32 v7, 0xff800000, v7
	v_cmp_gt_i32_e32 vcc_lo, 32, v6
	v_dual_cndmask_b32 v6, v1, v6, vcc_lo :: v_dual_bitop2_b32 v10, 8, v1 bitop3:0x14
	s_delay_alu instid0(VALU_DEP_1) | instskip(NEXT) | instid1(VALU_DEP_2)
	v_cmp_gt_i32_e32 vcc_lo, 32, v10
	v_lshlrev_b32_e32 v6, 2, v6
	ds_bpermute_b32 v9, v6, v7
	s_wait_dscnt 0x0
	v_max_num_f32_e32 v9, v9, v9
	v_cndmask_b32_e32 v10, v1, v10, vcc_lo
	v_cmp_gt_i32_e32 vcc_lo, 32, v11
	s_delay_alu instid0(VALU_DEP_2)
	v_dual_max_num_f32 v7, v7, v9 :: v_dual_lshlrev_b32 v10, 2, v10
	ds_bpermute_b32 v9, v10, v7
	s_wait_dscnt 0x0
	v_max_num_f32_e32 v9, v9, v9
	v_cndmask_b32_e32 v11, v1, v11, vcc_lo
	v_cmp_gt_i32_e32 vcc_lo, 32, v12
	s_delay_alu instid0(VALU_DEP_2) | instskip(SKIP_4) | instid1(VALU_DEP_1)
	v_dual_max_num_f32 v7, v7, v9 :: v_dual_lshlrev_b32 v11, 2, v11
	v_cndmask_b32_e32 v12, v1, v12, vcc_lo
	v_cmp_gt_i32_e32 vcc_lo, 32, v13
	ds_bpermute_b32 v9, v11, v7
	v_dual_cndmask_b32 v1, v1, v13 :: v_dual_lshlrev_b32 v12, 2, v12
	v_lshlrev_b32_e32 v1, 2, v1
	s_wait_dscnt 0x0
	v_max_num_f32_e32 v9, v9, v9
	s_delay_alu instid0(VALU_DEP_1) | instskip(SKIP_3) | instid1(VALU_DEP_1)
	v_max_num_f32_e32 v7, v7, v9
	ds_bpermute_b32 v9, v12, v7
	s_wait_dscnt 0x0
	v_max_num_f32_e32 v9, v9, v9
	v_max_num_f32_e32 v7, v7, v9
	ds_bpermute_b32 v9, v1, v7
	s_wait_dscnt 0x0
	v_max_num_f32_e32 v9, v9, v9
	s_delay_alu instid0(VALU_DEP_1) | instskip(NEXT) | instid1(VALU_DEP_1)
	v_max_num_f32_e32 v7, v7, v9
	v_sub_f32_e32 v7, v8, v7
	s_delay_alu instid0(VALU_DEP_1) | instskip(SKIP_1) | instid1(VALU_DEP_2)
	v_mul_f32_e32 v9, 0x3fb8aa3b, v7
	v_cmp_ngt_f32_e32 vcc_lo, 0xc2ce8ed0, v7
	v_fma_f32 v13, 0x3fb8aa3b, v7, -v9
	v_rndne_f32_e32 v14, v9
	s_delay_alu instid0(VALU_DEP_2) | instskip(NEXT) | instid1(VALU_DEP_2)
	v_fmamk_f32 v13, v7, 0x32a5705f, v13
	v_sub_f32_e32 v9, v9, v14
	s_delay_alu instid0(VALU_DEP_1) | instskip(SKIP_1) | instid1(VALU_DEP_2)
	v_add_f32_e32 v9, v9, v13
	v_cvt_i32_f32_e32 v13, v14
	v_exp_f32_e32 v9, v9
	v_nop
	s_delay_alu instid0(TRANS32_DEP_1) | instskip(NEXT) | instid1(VALU_DEP_1)
	v_ldexp_f32 v9, v9, v13
	v_cndmask_b32_e32 v9, 0, v9, vcc_lo
	v_cmp_nlt_f32_e32 vcc_lo, 0x42b17218, v7
	s_delay_alu instid0(VALU_DEP_2)
	v_cndmask_b32_e32 v7, 0x7f800000, v9, vcc_lo
	ds_bpermute_b32 v6, v6, v7
	s_wait_dscnt 0x0
	v_add_f32_e32 v6, v7, v6
	ds_bpermute_b32 v9, v10, v6
	s_wait_dscnt 0x0
	v_add_f32_e32 v6, v6, v9
	;; [unrolled: 3-line block ×5, first 2 shown]
	s_delay_alu instid0(VALU_DEP_1) | instskip(NEXT) | instid1(VALU_DEP_1)
	v_div_scale_f32 v6, null, v1, v1, 1.0
	v_rcp_f32_e32 v9, v6
	v_nop
	s_delay_alu instid0(TRANS32_DEP_1) | instskip(NEXT) | instid1(VALU_DEP_1)
	v_fma_f32 v10, -v6, v9, 1.0
	v_fmac_f32_e32 v9, v10, v9
	v_div_scale_f32 v10, vcc_lo, 1.0, v1, 1.0
	s_delay_alu instid0(VALU_DEP_1) | instskip(NEXT) | instid1(VALU_DEP_1)
	v_mul_f32_e32 v11, v10, v9
	v_fma_f32 v12, -v6, v11, v10
	s_delay_alu instid0(VALU_DEP_1) | instskip(NEXT) | instid1(VALU_DEP_1)
	v_fmac_f32_e32 v11, v12, v9
	v_fma_f32 v6, -v6, v11, v10
	s_delay_alu instid0(VALU_DEP_1) | instskip(NEXT) | instid1(VALU_DEP_1)
	v_div_fmas_f32 v6, v6, v9, v11
	v_div_fixup_f32 v1, v6, v1, 1.0
	s_delay_alu instid0(VALU_DEP_1)
	v_mul_f32_e32 v1, v7, v1
	s_and_not1_b32 vcc_lo, exec_lo, s4
	s_cbranch_vccz .LBB13_7
	s_branch .LBB13_8
.LBB13_6:
                                        ; implicit-def: $vgpr1
.LBB13_7:
	v_mul_f32_e32 v1, 0xbfb8aa3b, v8
	v_cmp_nlt_f32_e32 vcc_lo, 0x42ce8ed0, v8
	s_delay_alu instid0(VALU_DEP_2) | instskip(SKIP_1) | instid1(VALU_DEP_2)
	v_rndne_f32_e32 v6, v1
	v_fma_f32 v7, 0xbfb8aa3b, v8, -v1
	v_sub_f32_e32 v1, v1, v6
	s_delay_alu instid0(VALU_DEP_2) | instskip(SKIP_1) | instid1(VALU_DEP_2)
	v_fmamk_f32 v7, v8, 0xb2a5705f, v7
	v_cvt_i32_f32_e32 v6, v6
	v_add_f32_e32 v1, v1, v7
	s_delay_alu instid0(VALU_DEP_1) | instskip(SKIP_1) | instid1(TRANS32_DEP_1)
	v_exp_f32_e32 v1, v1
	v_nop
	v_ldexp_f32 v1, v1, v6
	s_delay_alu instid0(VALU_DEP_1) | instskip(SKIP_1) | instid1(VALU_DEP_2)
	v_cndmask_b32_e32 v1, 0, v1, vcc_lo
	v_cmp_ngt_f32_e32 vcc_lo, 0xc2b17218, v8
	v_cndmask_b32_e32 v1, 0x7f800000, v1, vcc_lo
	s_delay_alu instid0(VALU_DEP_1) | instskip(NEXT) | instid1(VALU_DEP_1)
	v_add_f32_e32 v1, 1.0, v1
	v_div_scale_f32 v6, null, v1, v1, 1.0
	s_delay_alu instid0(VALU_DEP_1) | instskip(SKIP_1) | instid1(TRANS32_DEP_1)
	v_rcp_f32_e32 v7, v6
	v_nop
	v_fma_f32 v8, -v6, v7, 1.0
	s_delay_alu instid0(VALU_DEP_1) | instskip(SKIP_1) | instid1(VALU_DEP_1)
	v_fmac_f32_e32 v7, v8, v7
	v_div_scale_f32 v8, vcc_lo, 1.0, v1, 1.0
	v_mul_f32_e32 v9, v8, v7
	s_delay_alu instid0(VALU_DEP_1) | instskip(NEXT) | instid1(VALU_DEP_1)
	v_fma_f32 v10, -v6, v9, v8
	v_fmac_f32_e32 v9, v10, v7
	s_delay_alu instid0(VALU_DEP_1) | instskip(NEXT) | instid1(VALU_DEP_1)
	v_fma_f32 v6, -v6, v9, v8
	v_div_fmas_f32 v6, v6, v7, v9
	s_delay_alu instid0(VALU_DEP_1)
	v_div_fixup_f32 v1, v6, v1, 1.0
.LBB13_8:
	s_delay_alu instid0(VALU_DEP_1)
	v_mov_b32_e32 v8, v1
.LBB13_9:
	s_lshr_b32 s1, s1, 8
	s_cmp_gt_i32 s5, 0
	s_wait_kmcnt 0x0
	s_mov_b32 s8, 0
	s_cbranch_scc1 .LBB13_11
; %bb.10:
	s_bitcmp1_b32 s1, 0
	s_cselect_b32 s4, -1, 0
	s_branch .LBB13_12
.LBB13_11:
	s_mov_b32 s8, -1
                                        ; implicit-def: $sgpr4
.LBB13_12:
	v_dual_mov_b32 v7, 0 :: v_dual_mov_b32 v6, 0
	v_mbcnt_lo_u32_b32 v1, -1, 0
	s_and_not1_b32 vcc_lo, exec_lo, s8
	s_cbranch_vccnz .LBB13_37
; %bb.13:
	v_cmp_o_f32_e32 vcc_lo, v8, v8
	s_delay_alu instid0(VALU_DEP_2)
	v_xor_b32_e32 v7, 8, v1
	v_xor_b32_e32 v6, 16, v1
	v_lshl_add_u64 v[2:3], v[2:3], 2, s[2:3]
	s_bitcmp1_b32 s1, 0
	v_cndmask_b32_e32 v8, 0xff7fffff, v8, vcc_lo
	s_mov_b32 s2, 0
	v_cmp_gt_i32_e32 vcc_lo, 32, v6
	s_cselect_b32 s4, -1, 0
	v_cndmask_b32_e32 v6, v1, v6, vcc_lo
	v_cmp_gt_i32_e32 vcc_lo, 32, v7
	v_dual_cndmask_b32 v7, v1, v7, vcc_lo :: v_dual_bitop2_b32 v11, 1, v1 bitop3:0x14
	v_xor_b32_e32 v10, 2, v1
	v_xor_b32_e32 v9, 4, v1
	s_delay_alu instid0(VALU_DEP_1) | instskip(SKIP_1) | instid1(VALU_DEP_4)
	v_cmp_gt_i32_e32 vcc_lo, 32, v9
	v_cndmask_b32_e32 v12, v1, v9, vcc_lo
	v_cmp_gt_i32_e32 vcc_lo, 32, v10
	v_dual_mov_b32 v6, 0 :: v_dual_lshlrev_b32 v9, 2, v6
	v_dual_cndmask_b32 v13, v1, v10 :: v_dual_lshlrev_b32 v10, 2, v7
	v_cmp_gt_i32_e32 vcc_lo, 32, v11
	v_dual_mov_b32 v7, 0 :: v_dual_cndmask_b32 v14, v1, v11
	s_delay_alu instid0(VALU_DEP_3) | instskip(NEXT) | instid1(VALU_DEP_2)
	v_dual_lshlrev_b32 v11, 2, v12 :: v_dual_lshlrev_b32 v12, 2, v13
	v_lshlrev_b32_e32 v13, 2, v14
	s_branch .LBB13_15
.LBB13_14:                              ;   in Loop: Header=BB13_15 Depth=1
	s_wait_xcnt 0x0
	s_or_b32 exec_lo, exec_lo, s1
	s_and_b32 s1, s2, 31
	v_cndmask_b32_e64 v8, v8, 0xff800000, vcc_lo
	v_cmp_eq_u32_e32 vcc_lo, s1, v5
	v_add_nc_u64_e32 v[2:3], 4, v[2:3]
	s_add_co_i32 s2, s2, 1
	s_delay_alu instid0(SALU_CYCLE_1)
	s_cmp_eq_u32 s5, s2
	v_cndmask_b32_e32 v6, v6, v14, vcc_lo
	s_cbranch_scc1 .LBB13_37
.LBB13_15:                              ; =>This Inner Loop Header: Depth=1
	s_wait_dscnt 0x0
	ds_bpermute_b32 v17, v9, v8
	ds_bpermute_b32 v18, v9, v5
	s_mov_b32 s8, exec_lo
	s_wait_dscnt 0x1
	v_cmp_lt_f32_e64 s3, v8, v17
	v_cmpx_nlt_f32_e32 v8, v17
	s_cbranch_execz .LBB13_17
; %bb.16:                               ;   in Loop: Header=BB13_15 Depth=1
	v_cmp_eq_f32_e32 vcc_lo, v8, v17
	s_wait_dscnt 0x0
	v_cmp_lt_i32_e64 s1, v18, v5
	s_and_not1_b32 s3, s3, exec_lo
	s_and_b32 s1, vcc_lo, s1
	s_delay_alu instid0(SALU_CYCLE_1) | instskip(NEXT) | instid1(SALU_CYCLE_1)
	s_and_b32 s1, s1, exec_lo
	s_or_b32 s3, s3, s1
.LBB13_17:                              ;   in Loop: Header=BB13_15 Depth=1
	s_or_b32 exec_lo, exec_lo, s8
	v_dual_mov_b32 v16, v8 :: v_dual_mov_b32 v14, v8
	v_mov_b32_e32 v15, v5
	s_and_saveexec_b32 s1, s3
	s_cbranch_execz .LBB13_19
; %bb.18:                               ;   in Loop: Header=BB13_15 Depth=1
	v_dual_mov_b32 v16, v17 :: v_dual_mov_b32 v14, v17
	s_wait_dscnt 0x0
	v_mov_b32_e32 v15, v18
.LBB13_19:                              ;   in Loop: Header=BB13_15 Depth=1
	s_or_b32 exec_lo, exec_lo, s1
	ds_bpermute_b32 v17, v10, v16
	s_wait_dscnt 0x1
	ds_bpermute_b32 v18, v10, v15
	s_mov_b32 s8, exec_lo
	s_wait_dscnt 0x1
	v_cmp_lt_f32_e64 s3, v14, v17
	v_cmpx_nlt_f32_e32 v14, v17
	s_cbranch_execz .LBB13_21
; %bb.20:                               ;   in Loop: Header=BB13_15 Depth=1
	v_cmp_eq_f32_e32 vcc_lo, v14, v17
	s_wait_dscnt 0x0
	v_cmp_lt_i32_e64 s1, v18, v15
	s_and_not1_b32 s3, s3, exec_lo
	s_and_b32 s1, vcc_lo, s1
	s_delay_alu instid0(SALU_CYCLE_1) | instskip(NEXT) | instid1(SALU_CYCLE_1)
	s_and_b32 s1, s1, exec_lo
	s_or_b32 s3, s3, s1
.LBB13_21:                              ;   in Loop: Header=BB13_15 Depth=1
	s_or_b32 exec_lo, exec_lo, s8
	s_and_saveexec_b32 s1, s3
	s_cbranch_execz .LBB13_23
; %bb.22:                               ;   in Loop: Header=BB13_15 Depth=1
	v_dual_mov_b32 v16, v17 :: v_dual_mov_b32 v14, v17
	s_wait_dscnt 0x0
	v_mov_b32_e32 v15, v18
.LBB13_23:                              ;   in Loop: Header=BB13_15 Depth=1
	s_or_b32 exec_lo, exec_lo, s1
	ds_bpermute_b32 v17, v11, v16
	s_wait_dscnt 0x1
	ds_bpermute_b32 v18, v11, v15
	s_mov_b32 s8, exec_lo
	s_wait_dscnt 0x1
	v_cmp_lt_f32_e64 s3, v14, v17
	v_cmpx_nlt_f32_e32 v14, v17
	s_cbranch_execz .LBB13_25
; %bb.24:                               ;   in Loop: Header=BB13_15 Depth=1
	v_cmp_eq_f32_e32 vcc_lo, v14, v17
	s_wait_dscnt 0x0
	v_cmp_lt_i32_e64 s1, v18, v15
	s_and_not1_b32 s3, s3, exec_lo
	s_and_b32 s1, vcc_lo, s1
	s_delay_alu instid0(SALU_CYCLE_1) | instskip(NEXT) | instid1(SALU_CYCLE_1)
	s_and_b32 s1, s1, exec_lo
	s_or_b32 s3, s3, s1
.LBB13_25:                              ;   in Loop: Header=BB13_15 Depth=1
	s_or_b32 exec_lo, exec_lo, s8
	;; [unrolled: 27-line block ×3, first 2 shown]
	s_and_saveexec_b32 s1, s3
	s_cbranch_execz .LBB13_31
; %bb.30:                               ;   in Loop: Header=BB13_15 Depth=1
	v_dual_mov_b32 v16, v17 :: v_dual_mov_b32 v14, v17
	s_wait_dscnt 0x0
	v_mov_b32_e32 v15, v18
.LBB13_31:                              ;   in Loop: Header=BB13_15 Depth=1
	s_or_b32 exec_lo, exec_lo, s1
	ds_bpermute_b32 v16, v13, v16
	ds_bpermute_b32 v17, v13, v15
	s_mov_b32 s8, exec_lo
	s_wait_dscnt 0x1
	v_cmp_lt_f32_e64 s3, v14, v16
	v_cmpx_nlt_f32_e32 v14, v16
	s_cbranch_execz .LBB13_33
; %bb.32:                               ;   in Loop: Header=BB13_15 Depth=1
	v_cmp_eq_f32_e32 vcc_lo, v14, v16
	s_wait_dscnt 0x0
	v_cmp_lt_i32_e64 s1, v17, v15
	s_and_not1_b32 s3, s3, exec_lo
	s_and_b32 s1, vcc_lo, s1
	s_delay_alu instid0(SALU_CYCLE_1) | instskip(NEXT) | instid1(SALU_CYCLE_1)
	s_and_b32 s1, s1, exec_lo
	s_or_b32 s3, s3, s1
.LBB13_33:                              ;   in Loop: Header=BB13_15 Depth=1
	s_or_b32 exec_lo, exec_lo, s8
	s_and_saveexec_b32 s1, s3
	s_cbranch_execz .LBB13_35
; %bb.34:                               ;   in Loop: Header=BB13_15 Depth=1
	s_wait_dscnt 0x0
	v_dual_mov_b32 v14, v16 :: v_dual_mov_b32 v15, v17
.LBB13_35:                              ;   in Loop: Header=BB13_15 Depth=1
	s_or_b32 exec_lo, exec_lo, s1
	s_delay_alu instid0(VALU_DEP_1) | instskip(NEXT) | instid1(VALU_DEP_1)
	v_and_b32_e32 v16, 31, v15
	v_cmp_eq_u32_e32 vcc_lo, v16, v5
	s_and_saveexec_b32 s1, vcc_lo
	s_cbranch_execz .LBB13_14
; %bb.36:                               ;   in Loop: Header=BB13_15 Depth=1
	v_add_f32_e32 v16, v7, v14
	global_store_b32 v[2:3], v15, off
	v_cndmask_b32_e64 v7, v7, v16, s4
	s_branch .LBB13_14
.LBB13_37:
	s_and_b32 vcc_lo, exec_lo, s4
	s_cbranch_vccnz .LBB13_42
; %bb.38:
	v_cmp_gt_i32_e64 s1, s5, v5
	s_and_not1_b32 vcc_lo, exec_lo, s0
	s_cbranch_vccz .LBB13_43
.LBB13_39:
	v_cmp_gt_i32_e32 vcc_lo, s5, v5
	s_and_b32 exec_lo, exec_lo, vcc_lo
	s_cbranch_execz .LBB13_41
.LBB13_40:
	v_mul_lo_u32 v2, v4, s5
	s_wait_dscnt 0x0
	s_delay_alu instid0(VALU_DEP_1) | instskip(NEXT) | instid1(VALU_DEP_1)
	v_dual_mov_b32 v1, 0 :: v_dual_ashrrev_i32 v3, 31, v2
	v_lshl_add_u64 v[2:3], v[2:3], 2, s[10:11]
	s_delay_alu instid0(VALU_DEP_1)
	v_add_nc_u64_e32 v[0:1], v[2:3], v[0:1]
	v_mul_f32_e32 v2, s7, v6
	global_store_b32 v[0:1], v2, off
.LBB13_41:
	s_endpgm
.LBB13_42:
	v_xor_b32_e32 v3, 8, v1
	v_xor_b32_e32 v2, 16, v1
	s_delay_alu instid0(VALU_DEP_1) | instskip(SKIP_1) | instid1(VALU_DEP_4)
	v_cmp_gt_i32_e32 vcc_lo, 32, v2
	v_cndmask_b32_e32 v2, v1, v2, vcc_lo
	v_cmp_gt_i32_e32 vcc_lo, 32, v3
	v_cndmask_b32_e32 v3, v1, v3, vcc_lo
	s_delay_alu instid0(VALU_DEP_1)
	v_dual_lshlrev_b32 v3, 2, v3 :: v_dual_lshlrev_b32 v2, 2, v2
	ds_bpermute_b32 v2, v2, v7
	s_wait_dscnt 0x0
	v_dual_add_f32 v2, v7, v2 :: v_dual_bitop2_b32 v7, 4, v1 bitop3:0x14
	ds_bpermute_b32 v3, v3, v2
	v_cmp_gt_i32_e32 vcc_lo, 32, v7
	v_cndmask_b32_e32 v7, v1, v7, vcc_lo
	s_delay_alu instid0(VALU_DEP_1) | instskip(SKIP_4) | instid1(VALU_DEP_1)
	v_lshlrev_b32_e32 v7, 2, v7
	s_wait_dscnt 0x0
	v_add_f32_e32 v2, v2, v3
	ds_bpermute_b32 v3, v7, v2
	v_xor_b32_e32 v7, 2, v1
	v_cmp_gt_i32_e32 vcc_lo, 32, v7
	v_cndmask_b32_e32 v7, v1, v7, vcc_lo
	s_delay_alu instid0(VALU_DEP_1) | instskip(SKIP_4) | instid1(VALU_DEP_1)
	v_lshlrev_b32_e32 v7, 2, v7
	s_wait_dscnt 0x0
	v_add_f32_e32 v2, v2, v3
	ds_bpermute_b32 v3, v7, v2
	v_xor_b32_e32 v7, 1, v1
	v_cmp_gt_i32_e32 vcc_lo, 32, v7
	v_cndmask_b32_e32 v7, v1, v7, vcc_lo
	s_delay_alu instid0(VALU_DEP_1)
	v_lshlrev_b32_e32 v7, 2, v7
	s_wait_dscnt 0x0
	v_add_f32_e32 v2, v2, v3
	ds_bpermute_b32 v3, v7, v2
	v_max_num_f32_e64 v7, s6, s6
	s_wait_dscnt 0x0
	v_add_f32_e32 v2, v2, v3
	s_delay_alu instid0(VALU_DEP_1) | instskip(NEXT) | instid1(VALU_DEP_1)
	v_max_num_f32_e32 v2, v2, v7
	v_div_scale_f32 v3, null, v2, v2, 1.0
	s_delay_alu instid0(VALU_DEP_1) | instskip(SKIP_1) | instid1(TRANS32_DEP_1)
	v_rcp_f32_e32 v7, v3
	v_nop
	v_fma_f32 v8, -v3, v7, 1.0
	s_delay_alu instid0(VALU_DEP_1) | instskip(SKIP_1) | instid1(VALU_DEP_1)
	v_fmac_f32_e32 v7, v8, v7
	v_div_scale_f32 v8, vcc_lo, 1.0, v2, 1.0
	v_mul_f32_e32 v9, v8, v7
	s_delay_alu instid0(VALU_DEP_1) | instskip(NEXT) | instid1(VALU_DEP_1)
	v_fma_f32 v10, -v3, v9, v8
	v_fmac_f32_e32 v9, v10, v7
	s_delay_alu instid0(VALU_DEP_1) | instskip(NEXT) | instid1(VALU_DEP_1)
	v_fma_f32 v3, -v3, v9, v8
	v_div_fmas_f32 v3, v3, v7, v9
	s_delay_alu instid0(VALU_DEP_1) | instskip(NEXT) | instid1(VALU_DEP_1)
	v_div_fixup_f32 v2, v3, v2, 1.0
	v_mul_f32_e32 v6, v2, v6
	v_cmp_gt_i32_e64 s1, s5, v5
	s_and_not1_b32 vcc_lo, exec_lo, s0
	s_cbranch_vccnz .LBB13_39
.LBB13_43:
	v_dual_max_num_f32 v2, v6, v6 :: v_dual_bitop2_b32 v3, 16, v1 bitop3:0x14
	v_xor_b32_e32 v10, 2, v1
	v_xor_b32_e32 v8, 8, v1
	s_delay_alu instid0(VALU_DEP_3) | instskip(NEXT) | instid1(VALU_DEP_4)
	v_cmp_gt_i32_e32 vcc_lo, 32, v3
	v_dual_max_num_f32 v2, 0xff800000, v2 :: v_dual_cndmask_b32 v3, v1, v3
	s_delay_alu instid0(VALU_DEP_1) | instskip(NEXT) | instid1(VALU_DEP_4)
	v_cndmask_b32_e64 v2, 0xff800000, v2, s1
	v_cmp_gt_i32_e32 vcc_lo, 32, v8
	s_delay_alu instid0(VALU_DEP_3) | instskip(SKIP_3) | instid1(VALU_DEP_1)
	v_lshlrev_b32_e32 v3, 2, v3
	ds_bpermute_b32 v7, v3, v2
	s_wait_dscnt 0x0
	v_dual_cndmask_b32 v8, v1, v8 :: v_dual_max_num_f32 v7, v7, v7
	v_dual_lshlrev_b32 v8, 2, v8 :: v_dual_max_num_f32 v2, v2, v7
	ds_bpermute_b32 v7, v8, v2
	s_wait_dscnt 0x0
	v_dual_max_num_f32 v7, v7, v7 :: v_dual_bitop2_b32 v9, 4, v1 bitop3:0x14
	s_delay_alu instid0(VALU_DEP_1) | instskip(NEXT) | instid1(VALU_DEP_2)
	v_cmp_gt_i32_e32 vcc_lo, 32, v9
	v_dual_max_num_f32 v2, v2, v7 :: v_dual_cndmask_b32 v9, v1, v9
	v_cmp_gt_i32_e32 vcc_lo, 32, v10
	s_delay_alu instid0(VALU_DEP_2) | instskip(SKIP_3) | instid1(VALU_DEP_1)
	v_dual_cndmask_b32 v10, v1, v10 :: v_dual_lshlrev_b32 v9, 2, v9
	ds_bpermute_b32 v7, v9, v2
	s_wait_dscnt 0x0
	v_dual_max_num_f32 v7, v7, v7 :: v_dual_lshlrev_b32 v10, 2, v10
	v_max_num_f32_e32 v2, v2, v7
	ds_bpermute_b32 v7, v10, v2
	s_wait_dscnt 0x0
	v_dual_max_num_f32 v7, v7, v7 :: v_dual_bitop2_b32 v11, 1, v1 bitop3:0x14
	s_delay_alu instid0(VALU_DEP_1) | instskip(SKIP_1) | instid1(VALU_DEP_1)
	v_cmp_gt_i32_e32 vcc_lo, 32, v11
	v_cndmask_b32_e32 v1, v1, v11, vcc_lo
	v_dual_lshlrev_b32 v11, 2, v1 :: v_dual_max_num_f32 v1, v2, v7
	ds_bpermute_b32 v2, v11, v1
	s_wait_dscnt 0x0
	v_max_num_f32_e32 v2, v2, v2
	s_delay_alu instid0(VALU_DEP_1) | instskip(NEXT) | instid1(VALU_DEP_1)
	v_max_num_f32_e32 v1, v1, v2
	v_sub_f32_e32 v1, v6, v1
	s_delay_alu instid0(VALU_DEP_1) | instskip(SKIP_1) | instid1(VALU_DEP_2)
	v_mul_f32_e32 v2, 0x3fb8aa3b, v1
	v_cmp_ngt_f32_e32 vcc_lo, 0xc2ce8ed0, v1
	v_fma_f32 v6, 0x3fb8aa3b, v1, -v2
	v_rndne_f32_e32 v7, v2
	s_delay_alu instid0(VALU_DEP_2) | instskip(NEXT) | instid1(VALU_DEP_2)
	v_fmamk_f32 v6, v1, 0x32a5705f, v6
	v_sub_f32_e32 v2, v2, v7
	s_delay_alu instid0(VALU_DEP_1) | instskip(SKIP_1) | instid1(VALU_DEP_2)
	v_add_f32_e32 v2, v2, v6
	v_cvt_i32_f32_e32 v6, v7
	v_exp_f32_e32 v2, v2
	v_nop
	s_delay_alu instid0(TRANS32_DEP_1) | instskip(NEXT) | instid1(VALU_DEP_1)
	v_ldexp_f32 v2, v2, v6
	v_dual_mov_b32 v6, 0 :: v_dual_cndmask_b32 v2, 0, v2, vcc_lo
	v_cmp_nlt_f32_e32 vcc_lo, 0x42b17218, v1
	s_delay_alu instid0(VALU_DEP_2) | instskip(NEXT) | instid1(VALU_DEP_1)
	v_cndmask_b32_e32 v1, 0x7f800000, v2, vcc_lo
	v_cndmask_b32_e64 v2, 0, v1, s1
	ds_bpermute_b32 v3, v3, v2
	s_wait_dscnt 0x0
	v_add_f32_e32 v2, v2, v3
	ds_bpermute_b32 v3, v8, v2
	s_wait_dscnt 0x0
	v_add_f32_e32 v2, v2, v3
	;; [unrolled: 3-line block ×4, first 2 shown]
	ds_bpermute_b32 v3, v11, v2
	s_and_saveexec_b32 s0, s1
	s_cbranch_execz .LBB13_45
; %bb.44:
	s_wait_dscnt 0x0
	v_add_f32_e32 v2, v2, v3
	s_delay_alu instid0(VALU_DEP_1) | instskip(NEXT) | instid1(VALU_DEP_1)
	v_div_scale_f32 v3, null, v2, v2, 1.0
	v_rcp_f32_e32 v6, v3
	v_nop
	s_delay_alu instid0(TRANS32_DEP_1) | instskip(NEXT) | instid1(VALU_DEP_1)
	v_fma_f32 v7, -v3, v6, 1.0
	v_fmac_f32_e32 v6, v7, v6
	v_div_scale_f32 v7, vcc_lo, 1.0, v2, 1.0
	s_delay_alu instid0(VALU_DEP_1) | instskip(NEXT) | instid1(VALU_DEP_1)
	v_mul_f32_e32 v8, v7, v6
	v_fma_f32 v9, -v3, v8, v7
	s_delay_alu instid0(VALU_DEP_1) | instskip(NEXT) | instid1(VALU_DEP_1)
	v_fmac_f32_e32 v8, v9, v6
	v_fma_f32 v3, -v3, v8, v7
	s_delay_alu instid0(VALU_DEP_1) | instskip(NEXT) | instid1(VALU_DEP_1)
	v_div_fmas_f32 v3, v3, v6, v8
	v_div_fixup_f32 v2, v3, v2, 1.0
	s_delay_alu instid0(VALU_DEP_1)
	v_mul_f32_e32 v6, v1, v2
.LBB13_45:
	s_or_b32 exec_lo, exec_lo, s0
	v_cmp_gt_i32_e32 vcc_lo, s5, v5
	s_and_b32 exec_lo, exec_lo, vcc_lo
	s_cbranch_execnz .LBB13_40
	s_branch .LBB13_41
	.section	.rodata,"a",@progbits
	.p2align	6, 0x0
	.amdhsa_kernel _Z13topk_moe_cudaILi4ELb0EEvPKfPfPiS2_iiff15topk_moe_config
		.amdhsa_group_segment_fixed_size 0
		.amdhsa_private_segment_fixed_size 0
		.amdhsa_kernarg_size 312
		.amdhsa_user_sgpr_count 2
		.amdhsa_user_sgpr_dispatch_ptr 0
		.amdhsa_user_sgpr_queue_ptr 0
		.amdhsa_user_sgpr_kernarg_segment_ptr 1
		.amdhsa_user_sgpr_dispatch_id 0
		.amdhsa_user_sgpr_kernarg_preload_length 0
		.amdhsa_user_sgpr_kernarg_preload_offset 0
		.amdhsa_user_sgpr_private_segment_size 0
		.amdhsa_wavefront_size32 1
		.amdhsa_uses_dynamic_stack 0
		.amdhsa_enable_private_segment 0
		.amdhsa_system_sgpr_workgroup_id_x 1
		.amdhsa_system_sgpr_workgroup_id_y 0
		.amdhsa_system_sgpr_workgroup_id_z 0
		.amdhsa_system_sgpr_workgroup_info 0
		.amdhsa_system_vgpr_workitem_id 1
		.amdhsa_next_free_vgpr 19
		.amdhsa_next_free_sgpr 12
		.amdhsa_named_barrier_count 0
		.amdhsa_reserve_vcc 1
		.amdhsa_float_round_mode_32 0
		.amdhsa_float_round_mode_16_64 0
		.amdhsa_float_denorm_mode_32 3
		.amdhsa_float_denorm_mode_16_64 3
		.amdhsa_fp16_overflow 0
		.amdhsa_memory_ordered 1
		.amdhsa_forward_progress 1
		.amdhsa_inst_pref_size 24
		.amdhsa_round_robin_scheduling 0
		.amdhsa_exception_fp_ieee_invalid_op 0
		.amdhsa_exception_fp_denorm_src 0
		.amdhsa_exception_fp_ieee_div_zero 0
		.amdhsa_exception_fp_ieee_overflow 0
		.amdhsa_exception_fp_ieee_underflow 0
		.amdhsa_exception_fp_ieee_inexact 0
		.amdhsa_exception_int_div_zero 0
	.end_amdhsa_kernel
	.section	.text._Z13topk_moe_cudaILi4ELb0EEvPKfPfPiS2_iiff15topk_moe_config,"axG",@progbits,_Z13topk_moe_cudaILi4ELb0EEvPKfPfPiS2_iiff15topk_moe_config,comdat
.Lfunc_end13:
	.size	_Z13topk_moe_cudaILi4ELb0EEvPKfPfPiS2_iiff15topk_moe_config, .Lfunc_end13-_Z13topk_moe_cudaILi4ELb0EEvPKfPfPiS2_iiff15topk_moe_config
                                        ; -- End function
	.set _Z13topk_moe_cudaILi4ELb0EEvPKfPfPiS2_iiff15topk_moe_config.num_vgpr, 19
	.set _Z13topk_moe_cudaILi4ELb0EEvPKfPfPiS2_iiff15topk_moe_config.num_agpr, 0
	.set _Z13topk_moe_cudaILi4ELb0EEvPKfPfPiS2_iiff15topk_moe_config.numbered_sgpr, 12
	.set _Z13topk_moe_cudaILi4ELb0EEvPKfPfPiS2_iiff15topk_moe_config.num_named_barrier, 0
	.set _Z13topk_moe_cudaILi4ELb0EEvPKfPfPiS2_iiff15topk_moe_config.private_seg_size, 0
	.set _Z13topk_moe_cudaILi4ELb0EEvPKfPfPiS2_iiff15topk_moe_config.uses_vcc, 1
	.set _Z13topk_moe_cudaILi4ELb0EEvPKfPfPiS2_iiff15topk_moe_config.uses_flat_scratch, 0
	.set _Z13topk_moe_cudaILi4ELb0EEvPKfPfPiS2_iiff15topk_moe_config.has_dyn_sized_stack, 0
	.set _Z13topk_moe_cudaILi4ELb0EEvPKfPfPiS2_iiff15topk_moe_config.has_recursion, 0
	.set _Z13topk_moe_cudaILi4ELb0EEvPKfPfPiS2_iiff15topk_moe_config.has_indirect_call, 0
	.section	.AMDGPU.csdata,"",@progbits
; Kernel info:
; codeLenInByte = 2956
; TotalNumSgprs: 14
; NumVgprs: 19
; ScratchSize: 0
; MemoryBound: 0
; FloatMode: 240
; IeeeMode: 1
; LDSByteSize: 0 bytes/workgroup (compile time only)
; SGPRBlocks: 0
; VGPRBlocks: 1
; NumSGPRsForWavesPerEU: 14
; NumVGPRsForWavesPerEU: 19
; NamedBarCnt: 0
; Occupancy: 16
; WaveLimiterHint : 0
; COMPUTE_PGM_RSRC2:SCRATCH_EN: 0
; COMPUTE_PGM_RSRC2:USER_SGPR: 2
; COMPUTE_PGM_RSRC2:TRAP_HANDLER: 0
; COMPUTE_PGM_RSRC2:TGID_X_EN: 1
; COMPUTE_PGM_RSRC2:TGID_Y_EN: 0
; COMPUTE_PGM_RSRC2:TGID_Z_EN: 0
; COMPUTE_PGM_RSRC2:TIDIG_COMP_CNT: 1
	.section	.text._Z13topk_moe_cudaILi8ELb0EEvPKfPfPiS2_iiff15topk_moe_config,"axG",@progbits,_Z13topk_moe_cudaILi8ELb0EEvPKfPfPiS2_iiff15topk_moe_config,comdat
	.protected	_Z13topk_moe_cudaILi8ELb0EEvPKfPfPiS2_iiff15topk_moe_config ; -- Begin function _Z13topk_moe_cudaILi8ELb0EEvPKfPfPiS2_iiff15topk_moe_config
	.globl	_Z13topk_moe_cudaILi8ELb0EEvPKfPfPiS2_iiff15topk_moe_config
	.p2align	8
	.type	_Z13topk_moe_cudaILi8ELb0EEvPKfPfPiS2_iiff15topk_moe_config,@function
_Z13topk_moe_cudaILi8ELb0EEvPKfPfPiS2_iiff15topk_moe_config: ; @_Z13topk_moe_cudaILi8ELb0EEvPKfPfPiS2_iiff15topk_moe_config
; %bb.0:
	s_clause 0x1
	s_load_u16 s2, s[0:1], 0x46
	s_load_b128 s[4:7], s[0:1], 0x20
	s_bfe_u32 s3, ttmp6, 0x4000c
	s_and_b32 s8, ttmp6, 15
	s_add_co_i32 s3, s3, 1
	v_bfe_u32 v1, v0, 10, 10
	s_mul_i32 s3, ttmp9, s3
	s_delay_alu instid0(SALU_CYCLE_1) | instskip(SKIP_1) | instid1(SALU_CYCLE_1)
	s_add_co_i32 s8, s8, s3
	s_getreg_b32 s3, hwreg(HW_REG_IB_STS2, 6, 4)
	s_cmp_eq_u32 s3, 0
	s_cselect_b32 s3, ttmp9, s8
	s_wait_kmcnt 0x0
	v_mad_u32 v4, s3, s2, v1
	s_mov_b32 s2, exec_lo
	s_delay_alu instid0(VALU_DEP_1)
	v_cmpx_gt_i32_e64 s4, v4
	s_cbranch_execz .LBB14_41
; %bb.1:
	v_dual_mov_b32 v1, 0 :: v_dual_lshlrev_b32 v2, 3, v4
	v_and_b32_e32 v5, 0x3ff, v0
	v_mov_b32_e32 v8, 0xff800000
	s_clause 0x1
	global_load_u16 v6, v1, s[0:1] offset:48
	global_load_i8 v7, v1, s[0:1] offset:50
	s_clause 0x1
	s_load_b128 s[8:11], s[0:1], 0x0
	s_load_b64 s[2:3], s[0:1], 0x10
	v_dual_ashrrev_i32 v3, 31, v2 :: v_dual_lshlrev_b32 v0, 2, v5
	s_wait_xcnt 0x0
	s_mov_b32 s0, exec_lo
	s_wait_loadcnt 0x1
	v_readfirstlane_b32 s1, v6
	v_cmpx_gt_u32_e32 8, v5
	s_cbranch_execz .LBB14_3
; %bb.2:
	s_wait_kmcnt 0x0
	v_lshl_add_u64 v[8:9], v[2:3], 2, s[8:9]
	s_delay_alu instid0(VALU_DEP_1)
	v_add_nc_u64_e32 v[8:9], v[8:9], v[0:1]
	global_load_b32 v8, v[8:9], off
.LBB14_3:
	s_wait_xcnt 0x0
	s_or_b32 exec_lo, exec_lo, s0
	s_wait_loadcnt 0x0
	v_and_b32_e32 v1, 1, v7
	s_delay_alu instid0(VALU_DEP_1)
	v_cmp_eq_u32_e64 s0, 1, v1
	s_and_b32 vcc_lo, exec_lo, s0
	s_cbranch_vccnz .LBB14_9
; %bb.4:
	v_and_b32_e32 v1, 1, v6
	s_mov_b32 s4, 0
	s_delay_alu instid0(VALU_DEP_1)
	v_cmp_eq_u32_e32 vcc_lo, 0, v1
	s_cbranch_vccz .LBB14_6
; %bb.5:
	v_mbcnt_lo_u32_b32 v1, -1, 0
	s_delay_alu instid0(VALU_DEP_1) | instskip(SKIP_3) | instid1(VALU_DEP_4)
	v_dual_max_num_f32 v7, v8, v8 :: v_dual_bitop2_b32 v6, 16, v1 bitop3:0x14
	v_xor_b32_e32 v12, 2, v1
	v_xor_b32_e32 v11, 4, v1
	;; [unrolled: 1-line block ×3, first 2 shown]
	v_max_num_f32_e32 v7, 0xff800000, v7
	v_cmp_gt_i32_e32 vcc_lo, 32, v6
	v_dual_cndmask_b32 v6, v1, v6, vcc_lo :: v_dual_bitop2_b32 v10, 8, v1 bitop3:0x14
	s_delay_alu instid0(VALU_DEP_1) | instskip(NEXT) | instid1(VALU_DEP_2)
	v_cmp_gt_i32_e32 vcc_lo, 32, v10
	v_lshlrev_b32_e32 v6, 2, v6
	ds_bpermute_b32 v9, v6, v7
	s_wait_dscnt 0x0
	v_max_num_f32_e32 v9, v9, v9
	v_cndmask_b32_e32 v10, v1, v10, vcc_lo
	v_cmp_gt_i32_e32 vcc_lo, 32, v11
	s_delay_alu instid0(VALU_DEP_2)
	v_dual_max_num_f32 v7, v7, v9 :: v_dual_lshlrev_b32 v10, 2, v10
	ds_bpermute_b32 v9, v10, v7
	s_wait_dscnt 0x0
	v_max_num_f32_e32 v9, v9, v9
	v_cndmask_b32_e32 v11, v1, v11, vcc_lo
	v_cmp_gt_i32_e32 vcc_lo, 32, v12
	s_delay_alu instid0(VALU_DEP_2) | instskip(SKIP_4) | instid1(VALU_DEP_1)
	v_dual_max_num_f32 v7, v7, v9 :: v_dual_lshlrev_b32 v11, 2, v11
	v_cndmask_b32_e32 v12, v1, v12, vcc_lo
	v_cmp_gt_i32_e32 vcc_lo, 32, v13
	ds_bpermute_b32 v9, v11, v7
	v_dual_cndmask_b32 v1, v1, v13 :: v_dual_lshlrev_b32 v12, 2, v12
	v_lshlrev_b32_e32 v1, 2, v1
	s_wait_dscnt 0x0
	v_max_num_f32_e32 v9, v9, v9
	s_delay_alu instid0(VALU_DEP_1) | instskip(SKIP_3) | instid1(VALU_DEP_1)
	v_max_num_f32_e32 v7, v7, v9
	ds_bpermute_b32 v9, v12, v7
	s_wait_dscnt 0x0
	v_max_num_f32_e32 v9, v9, v9
	v_max_num_f32_e32 v7, v7, v9
	ds_bpermute_b32 v9, v1, v7
	s_wait_dscnt 0x0
	v_max_num_f32_e32 v9, v9, v9
	s_delay_alu instid0(VALU_DEP_1) | instskip(NEXT) | instid1(VALU_DEP_1)
	v_max_num_f32_e32 v7, v7, v9
	v_sub_f32_e32 v7, v8, v7
	s_delay_alu instid0(VALU_DEP_1) | instskip(SKIP_1) | instid1(VALU_DEP_2)
	v_mul_f32_e32 v9, 0x3fb8aa3b, v7
	v_cmp_ngt_f32_e32 vcc_lo, 0xc2ce8ed0, v7
	v_fma_f32 v13, 0x3fb8aa3b, v7, -v9
	v_rndne_f32_e32 v14, v9
	s_delay_alu instid0(VALU_DEP_2) | instskip(NEXT) | instid1(VALU_DEP_2)
	v_fmamk_f32 v13, v7, 0x32a5705f, v13
	v_sub_f32_e32 v9, v9, v14
	s_delay_alu instid0(VALU_DEP_1) | instskip(SKIP_1) | instid1(VALU_DEP_2)
	v_add_f32_e32 v9, v9, v13
	v_cvt_i32_f32_e32 v13, v14
	v_exp_f32_e32 v9, v9
	v_nop
	s_delay_alu instid0(TRANS32_DEP_1) | instskip(NEXT) | instid1(VALU_DEP_1)
	v_ldexp_f32 v9, v9, v13
	v_cndmask_b32_e32 v9, 0, v9, vcc_lo
	v_cmp_nlt_f32_e32 vcc_lo, 0x42b17218, v7
	s_delay_alu instid0(VALU_DEP_2)
	v_cndmask_b32_e32 v7, 0x7f800000, v9, vcc_lo
	ds_bpermute_b32 v6, v6, v7
	s_wait_dscnt 0x0
	v_add_f32_e32 v6, v7, v6
	ds_bpermute_b32 v9, v10, v6
	s_wait_dscnt 0x0
	v_add_f32_e32 v6, v6, v9
	;; [unrolled: 3-line block ×5, first 2 shown]
	s_delay_alu instid0(VALU_DEP_1) | instskip(NEXT) | instid1(VALU_DEP_1)
	v_div_scale_f32 v6, null, v1, v1, 1.0
	v_rcp_f32_e32 v9, v6
	v_nop
	s_delay_alu instid0(TRANS32_DEP_1) | instskip(NEXT) | instid1(VALU_DEP_1)
	v_fma_f32 v10, -v6, v9, 1.0
	v_fmac_f32_e32 v9, v10, v9
	v_div_scale_f32 v10, vcc_lo, 1.0, v1, 1.0
	s_delay_alu instid0(VALU_DEP_1) | instskip(NEXT) | instid1(VALU_DEP_1)
	v_mul_f32_e32 v11, v10, v9
	v_fma_f32 v12, -v6, v11, v10
	s_delay_alu instid0(VALU_DEP_1) | instskip(NEXT) | instid1(VALU_DEP_1)
	v_fmac_f32_e32 v11, v12, v9
	v_fma_f32 v6, -v6, v11, v10
	s_delay_alu instid0(VALU_DEP_1) | instskip(NEXT) | instid1(VALU_DEP_1)
	v_div_fmas_f32 v6, v6, v9, v11
	v_div_fixup_f32 v1, v6, v1, 1.0
	s_delay_alu instid0(VALU_DEP_1)
	v_mul_f32_e32 v1, v7, v1
	s_and_not1_b32 vcc_lo, exec_lo, s4
	s_cbranch_vccz .LBB14_7
	s_branch .LBB14_8
.LBB14_6:
                                        ; implicit-def: $vgpr1
.LBB14_7:
	v_mul_f32_e32 v1, 0xbfb8aa3b, v8
	v_cmp_nlt_f32_e32 vcc_lo, 0x42ce8ed0, v8
	s_delay_alu instid0(VALU_DEP_2) | instskip(SKIP_1) | instid1(VALU_DEP_2)
	v_rndne_f32_e32 v6, v1
	v_fma_f32 v7, 0xbfb8aa3b, v8, -v1
	v_sub_f32_e32 v1, v1, v6
	s_delay_alu instid0(VALU_DEP_2) | instskip(SKIP_1) | instid1(VALU_DEP_2)
	v_fmamk_f32 v7, v8, 0xb2a5705f, v7
	v_cvt_i32_f32_e32 v6, v6
	v_add_f32_e32 v1, v1, v7
	s_delay_alu instid0(VALU_DEP_1) | instskip(SKIP_1) | instid1(TRANS32_DEP_1)
	v_exp_f32_e32 v1, v1
	v_nop
	v_ldexp_f32 v1, v1, v6
	s_delay_alu instid0(VALU_DEP_1) | instskip(SKIP_1) | instid1(VALU_DEP_2)
	v_cndmask_b32_e32 v1, 0, v1, vcc_lo
	v_cmp_ngt_f32_e32 vcc_lo, 0xc2b17218, v8
	v_cndmask_b32_e32 v1, 0x7f800000, v1, vcc_lo
	s_delay_alu instid0(VALU_DEP_1) | instskip(NEXT) | instid1(VALU_DEP_1)
	v_add_f32_e32 v1, 1.0, v1
	v_div_scale_f32 v6, null, v1, v1, 1.0
	s_delay_alu instid0(VALU_DEP_1) | instskip(SKIP_1) | instid1(TRANS32_DEP_1)
	v_rcp_f32_e32 v7, v6
	v_nop
	v_fma_f32 v8, -v6, v7, 1.0
	s_delay_alu instid0(VALU_DEP_1) | instskip(SKIP_1) | instid1(VALU_DEP_1)
	v_fmac_f32_e32 v7, v8, v7
	v_div_scale_f32 v8, vcc_lo, 1.0, v1, 1.0
	v_mul_f32_e32 v9, v8, v7
	s_delay_alu instid0(VALU_DEP_1) | instskip(NEXT) | instid1(VALU_DEP_1)
	v_fma_f32 v10, -v6, v9, v8
	v_fmac_f32_e32 v9, v10, v7
	s_delay_alu instid0(VALU_DEP_1) | instskip(NEXT) | instid1(VALU_DEP_1)
	v_fma_f32 v6, -v6, v9, v8
	v_div_fmas_f32 v6, v6, v7, v9
	s_delay_alu instid0(VALU_DEP_1)
	v_div_fixup_f32 v1, v6, v1, 1.0
.LBB14_8:
	s_delay_alu instid0(VALU_DEP_1)
	v_mov_b32_e32 v8, v1
.LBB14_9:
	s_lshr_b32 s1, s1, 8
	s_cmp_gt_i32 s5, 0
	s_wait_kmcnt 0x0
	s_mov_b32 s8, 0
	s_cbranch_scc1 .LBB14_11
; %bb.10:
	s_bitcmp1_b32 s1, 0
	s_cselect_b32 s4, -1, 0
	s_branch .LBB14_12
.LBB14_11:
	s_mov_b32 s8, -1
                                        ; implicit-def: $sgpr4
.LBB14_12:
	v_dual_mov_b32 v7, 0 :: v_dual_mov_b32 v6, 0
	v_mbcnt_lo_u32_b32 v1, -1, 0
	s_and_not1_b32 vcc_lo, exec_lo, s8
	s_cbranch_vccnz .LBB14_37
; %bb.13:
	v_cmp_o_f32_e32 vcc_lo, v8, v8
	s_delay_alu instid0(VALU_DEP_2)
	v_xor_b32_e32 v7, 8, v1
	v_xor_b32_e32 v6, 16, v1
	v_lshl_add_u64 v[2:3], v[2:3], 2, s[2:3]
	s_bitcmp1_b32 s1, 0
	v_cndmask_b32_e32 v8, 0xff7fffff, v8, vcc_lo
	s_mov_b32 s2, 0
	v_cmp_gt_i32_e32 vcc_lo, 32, v6
	s_cselect_b32 s4, -1, 0
	v_cndmask_b32_e32 v6, v1, v6, vcc_lo
	v_cmp_gt_i32_e32 vcc_lo, 32, v7
	v_dual_cndmask_b32 v7, v1, v7, vcc_lo :: v_dual_bitop2_b32 v11, 1, v1 bitop3:0x14
	v_xor_b32_e32 v10, 2, v1
	v_xor_b32_e32 v9, 4, v1
	s_delay_alu instid0(VALU_DEP_1) | instskip(SKIP_1) | instid1(VALU_DEP_4)
	v_cmp_gt_i32_e32 vcc_lo, 32, v9
	v_cndmask_b32_e32 v12, v1, v9, vcc_lo
	v_cmp_gt_i32_e32 vcc_lo, 32, v10
	v_dual_mov_b32 v6, 0 :: v_dual_lshlrev_b32 v9, 2, v6
	v_dual_cndmask_b32 v13, v1, v10 :: v_dual_lshlrev_b32 v10, 2, v7
	v_cmp_gt_i32_e32 vcc_lo, 32, v11
	v_dual_mov_b32 v7, 0 :: v_dual_cndmask_b32 v14, v1, v11
	s_delay_alu instid0(VALU_DEP_3) | instskip(NEXT) | instid1(VALU_DEP_2)
	v_dual_lshlrev_b32 v11, 2, v12 :: v_dual_lshlrev_b32 v12, 2, v13
	v_lshlrev_b32_e32 v13, 2, v14
	s_branch .LBB14_15
.LBB14_14:                              ;   in Loop: Header=BB14_15 Depth=1
	s_wait_xcnt 0x0
	s_or_b32 exec_lo, exec_lo, s1
	s_and_b32 s1, s2, 31
	v_cndmask_b32_e64 v8, v8, 0xff800000, vcc_lo
	v_cmp_eq_u32_e32 vcc_lo, s1, v5
	v_add_nc_u64_e32 v[2:3], 4, v[2:3]
	s_add_co_i32 s2, s2, 1
	s_delay_alu instid0(SALU_CYCLE_1)
	s_cmp_eq_u32 s5, s2
	v_cndmask_b32_e32 v6, v6, v14, vcc_lo
	s_cbranch_scc1 .LBB14_37
.LBB14_15:                              ; =>This Inner Loop Header: Depth=1
	s_wait_dscnt 0x0
	ds_bpermute_b32 v17, v9, v8
	ds_bpermute_b32 v18, v9, v5
	s_mov_b32 s8, exec_lo
	s_wait_dscnt 0x1
	v_cmp_lt_f32_e64 s3, v8, v17
	v_cmpx_nlt_f32_e32 v8, v17
	s_cbranch_execz .LBB14_17
; %bb.16:                               ;   in Loop: Header=BB14_15 Depth=1
	v_cmp_eq_f32_e32 vcc_lo, v8, v17
	s_wait_dscnt 0x0
	v_cmp_lt_i32_e64 s1, v18, v5
	s_and_not1_b32 s3, s3, exec_lo
	s_and_b32 s1, vcc_lo, s1
	s_delay_alu instid0(SALU_CYCLE_1) | instskip(NEXT) | instid1(SALU_CYCLE_1)
	s_and_b32 s1, s1, exec_lo
	s_or_b32 s3, s3, s1
.LBB14_17:                              ;   in Loop: Header=BB14_15 Depth=1
	s_or_b32 exec_lo, exec_lo, s8
	v_dual_mov_b32 v16, v8 :: v_dual_mov_b32 v14, v8
	v_mov_b32_e32 v15, v5
	s_and_saveexec_b32 s1, s3
	s_cbranch_execz .LBB14_19
; %bb.18:                               ;   in Loop: Header=BB14_15 Depth=1
	v_dual_mov_b32 v16, v17 :: v_dual_mov_b32 v14, v17
	s_wait_dscnt 0x0
	v_mov_b32_e32 v15, v18
.LBB14_19:                              ;   in Loop: Header=BB14_15 Depth=1
	s_or_b32 exec_lo, exec_lo, s1
	ds_bpermute_b32 v17, v10, v16
	s_wait_dscnt 0x1
	ds_bpermute_b32 v18, v10, v15
	s_mov_b32 s8, exec_lo
	s_wait_dscnt 0x1
	v_cmp_lt_f32_e64 s3, v14, v17
	v_cmpx_nlt_f32_e32 v14, v17
	s_cbranch_execz .LBB14_21
; %bb.20:                               ;   in Loop: Header=BB14_15 Depth=1
	v_cmp_eq_f32_e32 vcc_lo, v14, v17
	s_wait_dscnt 0x0
	v_cmp_lt_i32_e64 s1, v18, v15
	s_and_not1_b32 s3, s3, exec_lo
	s_and_b32 s1, vcc_lo, s1
	s_delay_alu instid0(SALU_CYCLE_1) | instskip(NEXT) | instid1(SALU_CYCLE_1)
	s_and_b32 s1, s1, exec_lo
	s_or_b32 s3, s3, s1
.LBB14_21:                              ;   in Loop: Header=BB14_15 Depth=1
	s_or_b32 exec_lo, exec_lo, s8
	s_and_saveexec_b32 s1, s3
	s_cbranch_execz .LBB14_23
; %bb.22:                               ;   in Loop: Header=BB14_15 Depth=1
	v_dual_mov_b32 v16, v17 :: v_dual_mov_b32 v14, v17
	s_wait_dscnt 0x0
	v_mov_b32_e32 v15, v18
.LBB14_23:                              ;   in Loop: Header=BB14_15 Depth=1
	s_or_b32 exec_lo, exec_lo, s1
	ds_bpermute_b32 v17, v11, v16
	s_wait_dscnt 0x1
	ds_bpermute_b32 v18, v11, v15
	s_mov_b32 s8, exec_lo
	s_wait_dscnt 0x1
	v_cmp_lt_f32_e64 s3, v14, v17
	v_cmpx_nlt_f32_e32 v14, v17
	s_cbranch_execz .LBB14_25
; %bb.24:                               ;   in Loop: Header=BB14_15 Depth=1
	v_cmp_eq_f32_e32 vcc_lo, v14, v17
	s_wait_dscnt 0x0
	v_cmp_lt_i32_e64 s1, v18, v15
	s_and_not1_b32 s3, s3, exec_lo
	s_and_b32 s1, vcc_lo, s1
	s_delay_alu instid0(SALU_CYCLE_1) | instskip(NEXT) | instid1(SALU_CYCLE_1)
	s_and_b32 s1, s1, exec_lo
	s_or_b32 s3, s3, s1
.LBB14_25:                              ;   in Loop: Header=BB14_15 Depth=1
	s_or_b32 exec_lo, exec_lo, s8
	;; [unrolled: 27-line block ×3, first 2 shown]
	s_and_saveexec_b32 s1, s3
	s_cbranch_execz .LBB14_31
; %bb.30:                               ;   in Loop: Header=BB14_15 Depth=1
	v_dual_mov_b32 v16, v17 :: v_dual_mov_b32 v14, v17
	s_wait_dscnt 0x0
	v_mov_b32_e32 v15, v18
.LBB14_31:                              ;   in Loop: Header=BB14_15 Depth=1
	s_or_b32 exec_lo, exec_lo, s1
	ds_bpermute_b32 v16, v13, v16
	ds_bpermute_b32 v17, v13, v15
	s_mov_b32 s8, exec_lo
	s_wait_dscnt 0x1
	v_cmp_lt_f32_e64 s3, v14, v16
	v_cmpx_nlt_f32_e32 v14, v16
	s_cbranch_execz .LBB14_33
; %bb.32:                               ;   in Loop: Header=BB14_15 Depth=1
	v_cmp_eq_f32_e32 vcc_lo, v14, v16
	s_wait_dscnt 0x0
	v_cmp_lt_i32_e64 s1, v17, v15
	s_and_not1_b32 s3, s3, exec_lo
	s_and_b32 s1, vcc_lo, s1
	s_delay_alu instid0(SALU_CYCLE_1) | instskip(NEXT) | instid1(SALU_CYCLE_1)
	s_and_b32 s1, s1, exec_lo
	s_or_b32 s3, s3, s1
.LBB14_33:                              ;   in Loop: Header=BB14_15 Depth=1
	s_or_b32 exec_lo, exec_lo, s8
	s_and_saveexec_b32 s1, s3
	s_cbranch_execz .LBB14_35
; %bb.34:                               ;   in Loop: Header=BB14_15 Depth=1
	s_wait_dscnt 0x0
	v_dual_mov_b32 v14, v16 :: v_dual_mov_b32 v15, v17
.LBB14_35:                              ;   in Loop: Header=BB14_15 Depth=1
	s_or_b32 exec_lo, exec_lo, s1
	s_delay_alu instid0(VALU_DEP_1) | instskip(NEXT) | instid1(VALU_DEP_1)
	v_and_b32_e32 v16, 31, v15
	v_cmp_eq_u32_e32 vcc_lo, v16, v5
	s_and_saveexec_b32 s1, vcc_lo
	s_cbranch_execz .LBB14_14
; %bb.36:                               ;   in Loop: Header=BB14_15 Depth=1
	v_add_f32_e32 v16, v7, v14
	global_store_b32 v[2:3], v15, off
	v_cndmask_b32_e64 v7, v7, v16, s4
	s_branch .LBB14_14
.LBB14_37:
	s_and_b32 vcc_lo, exec_lo, s4
	s_cbranch_vccnz .LBB14_42
; %bb.38:
	v_cmp_gt_i32_e64 s1, s5, v5
	s_and_not1_b32 vcc_lo, exec_lo, s0
	s_cbranch_vccz .LBB14_43
.LBB14_39:
	v_cmp_gt_i32_e32 vcc_lo, s5, v5
	s_and_b32 exec_lo, exec_lo, vcc_lo
	s_cbranch_execz .LBB14_41
.LBB14_40:
	v_mul_lo_u32 v2, v4, s5
	s_wait_dscnt 0x0
	s_delay_alu instid0(VALU_DEP_1) | instskip(NEXT) | instid1(VALU_DEP_1)
	v_dual_mov_b32 v1, 0 :: v_dual_ashrrev_i32 v3, 31, v2
	v_lshl_add_u64 v[2:3], v[2:3], 2, s[10:11]
	s_delay_alu instid0(VALU_DEP_1)
	v_add_nc_u64_e32 v[0:1], v[2:3], v[0:1]
	v_mul_f32_e32 v2, s7, v6
	global_store_b32 v[0:1], v2, off
.LBB14_41:
	s_endpgm
.LBB14_42:
	v_xor_b32_e32 v3, 8, v1
	v_xor_b32_e32 v2, 16, v1
	s_delay_alu instid0(VALU_DEP_1) | instskip(SKIP_1) | instid1(VALU_DEP_4)
	v_cmp_gt_i32_e32 vcc_lo, 32, v2
	v_cndmask_b32_e32 v2, v1, v2, vcc_lo
	v_cmp_gt_i32_e32 vcc_lo, 32, v3
	v_cndmask_b32_e32 v3, v1, v3, vcc_lo
	s_delay_alu instid0(VALU_DEP_1)
	v_dual_lshlrev_b32 v3, 2, v3 :: v_dual_lshlrev_b32 v2, 2, v2
	ds_bpermute_b32 v2, v2, v7
	s_wait_dscnt 0x0
	v_dual_add_f32 v2, v7, v2 :: v_dual_bitop2_b32 v7, 4, v1 bitop3:0x14
	ds_bpermute_b32 v3, v3, v2
	v_cmp_gt_i32_e32 vcc_lo, 32, v7
	v_cndmask_b32_e32 v7, v1, v7, vcc_lo
	s_delay_alu instid0(VALU_DEP_1) | instskip(SKIP_4) | instid1(VALU_DEP_1)
	v_lshlrev_b32_e32 v7, 2, v7
	s_wait_dscnt 0x0
	v_add_f32_e32 v2, v2, v3
	ds_bpermute_b32 v3, v7, v2
	v_xor_b32_e32 v7, 2, v1
	v_cmp_gt_i32_e32 vcc_lo, 32, v7
	v_cndmask_b32_e32 v7, v1, v7, vcc_lo
	s_delay_alu instid0(VALU_DEP_1) | instskip(SKIP_4) | instid1(VALU_DEP_1)
	v_lshlrev_b32_e32 v7, 2, v7
	s_wait_dscnt 0x0
	v_add_f32_e32 v2, v2, v3
	ds_bpermute_b32 v3, v7, v2
	v_xor_b32_e32 v7, 1, v1
	v_cmp_gt_i32_e32 vcc_lo, 32, v7
	v_cndmask_b32_e32 v7, v1, v7, vcc_lo
	s_delay_alu instid0(VALU_DEP_1)
	v_lshlrev_b32_e32 v7, 2, v7
	s_wait_dscnt 0x0
	v_add_f32_e32 v2, v2, v3
	ds_bpermute_b32 v3, v7, v2
	v_max_num_f32_e64 v7, s6, s6
	s_wait_dscnt 0x0
	v_add_f32_e32 v2, v2, v3
	s_delay_alu instid0(VALU_DEP_1) | instskip(NEXT) | instid1(VALU_DEP_1)
	v_max_num_f32_e32 v2, v2, v7
	v_div_scale_f32 v3, null, v2, v2, 1.0
	s_delay_alu instid0(VALU_DEP_1) | instskip(SKIP_1) | instid1(TRANS32_DEP_1)
	v_rcp_f32_e32 v7, v3
	v_nop
	v_fma_f32 v8, -v3, v7, 1.0
	s_delay_alu instid0(VALU_DEP_1) | instskip(SKIP_1) | instid1(VALU_DEP_1)
	v_fmac_f32_e32 v7, v8, v7
	v_div_scale_f32 v8, vcc_lo, 1.0, v2, 1.0
	v_mul_f32_e32 v9, v8, v7
	s_delay_alu instid0(VALU_DEP_1) | instskip(NEXT) | instid1(VALU_DEP_1)
	v_fma_f32 v10, -v3, v9, v8
	v_fmac_f32_e32 v9, v10, v7
	s_delay_alu instid0(VALU_DEP_1) | instskip(NEXT) | instid1(VALU_DEP_1)
	v_fma_f32 v3, -v3, v9, v8
	v_div_fmas_f32 v3, v3, v7, v9
	s_delay_alu instid0(VALU_DEP_1) | instskip(NEXT) | instid1(VALU_DEP_1)
	v_div_fixup_f32 v2, v3, v2, 1.0
	v_mul_f32_e32 v6, v2, v6
	v_cmp_gt_i32_e64 s1, s5, v5
	s_and_not1_b32 vcc_lo, exec_lo, s0
	s_cbranch_vccnz .LBB14_39
.LBB14_43:
	v_dual_max_num_f32 v2, v6, v6 :: v_dual_bitop2_b32 v3, 16, v1 bitop3:0x14
	v_xor_b32_e32 v10, 2, v1
	v_xor_b32_e32 v8, 8, v1
	s_delay_alu instid0(VALU_DEP_3) | instskip(NEXT) | instid1(VALU_DEP_4)
	v_cmp_gt_i32_e32 vcc_lo, 32, v3
	v_dual_max_num_f32 v2, 0xff800000, v2 :: v_dual_cndmask_b32 v3, v1, v3
	s_delay_alu instid0(VALU_DEP_1) | instskip(NEXT) | instid1(VALU_DEP_4)
	v_cndmask_b32_e64 v2, 0xff800000, v2, s1
	v_cmp_gt_i32_e32 vcc_lo, 32, v8
	s_delay_alu instid0(VALU_DEP_3) | instskip(SKIP_3) | instid1(VALU_DEP_1)
	v_lshlrev_b32_e32 v3, 2, v3
	ds_bpermute_b32 v7, v3, v2
	s_wait_dscnt 0x0
	v_dual_cndmask_b32 v8, v1, v8 :: v_dual_max_num_f32 v7, v7, v7
	v_dual_lshlrev_b32 v8, 2, v8 :: v_dual_max_num_f32 v2, v2, v7
	ds_bpermute_b32 v7, v8, v2
	s_wait_dscnt 0x0
	v_dual_max_num_f32 v7, v7, v7 :: v_dual_bitop2_b32 v9, 4, v1 bitop3:0x14
	s_delay_alu instid0(VALU_DEP_1) | instskip(NEXT) | instid1(VALU_DEP_2)
	v_cmp_gt_i32_e32 vcc_lo, 32, v9
	v_dual_max_num_f32 v2, v2, v7 :: v_dual_cndmask_b32 v9, v1, v9
	v_cmp_gt_i32_e32 vcc_lo, 32, v10
	s_delay_alu instid0(VALU_DEP_2) | instskip(SKIP_3) | instid1(VALU_DEP_1)
	v_dual_cndmask_b32 v10, v1, v10 :: v_dual_lshlrev_b32 v9, 2, v9
	ds_bpermute_b32 v7, v9, v2
	s_wait_dscnt 0x0
	v_dual_max_num_f32 v7, v7, v7 :: v_dual_lshlrev_b32 v10, 2, v10
	v_max_num_f32_e32 v2, v2, v7
	ds_bpermute_b32 v7, v10, v2
	s_wait_dscnt 0x0
	v_dual_max_num_f32 v7, v7, v7 :: v_dual_bitop2_b32 v11, 1, v1 bitop3:0x14
	s_delay_alu instid0(VALU_DEP_1) | instskip(SKIP_1) | instid1(VALU_DEP_1)
	v_cmp_gt_i32_e32 vcc_lo, 32, v11
	v_cndmask_b32_e32 v1, v1, v11, vcc_lo
	v_dual_lshlrev_b32 v11, 2, v1 :: v_dual_max_num_f32 v1, v2, v7
	ds_bpermute_b32 v2, v11, v1
	s_wait_dscnt 0x0
	v_max_num_f32_e32 v2, v2, v2
	s_delay_alu instid0(VALU_DEP_1) | instskip(NEXT) | instid1(VALU_DEP_1)
	v_max_num_f32_e32 v1, v1, v2
	v_sub_f32_e32 v1, v6, v1
	s_delay_alu instid0(VALU_DEP_1) | instskip(SKIP_1) | instid1(VALU_DEP_2)
	v_mul_f32_e32 v2, 0x3fb8aa3b, v1
	v_cmp_ngt_f32_e32 vcc_lo, 0xc2ce8ed0, v1
	v_fma_f32 v6, 0x3fb8aa3b, v1, -v2
	v_rndne_f32_e32 v7, v2
	s_delay_alu instid0(VALU_DEP_2) | instskip(NEXT) | instid1(VALU_DEP_2)
	v_fmamk_f32 v6, v1, 0x32a5705f, v6
	v_sub_f32_e32 v2, v2, v7
	s_delay_alu instid0(VALU_DEP_1) | instskip(SKIP_1) | instid1(VALU_DEP_2)
	v_add_f32_e32 v2, v2, v6
	v_cvt_i32_f32_e32 v6, v7
	v_exp_f32_e32 v2, v2
	v_nop
	s_delay_alu instid0(TRANS32_DEP_1) | instskip(NEXT) | instid1(VALU_DEP_1)
	v_ldexp_f32 v2, v2, v6
	v_dual_mov_b32 v6, 0 :: v_dual_cndmask_b32 v2, 0, v2, vcc_lo
	v_cmp_nlt_f32_e32 vcc_lo, 0x42b17218, v1
	s_delay_alu instid0(VALU_DEP_2) | instskip(NEXT) | instid1(VALU_DEP_1)
	v_cndmask_b32_e32 v1, 0x7f800000, v2, vcc_lo
	v_cndmask_b32_e64 v2, 0, v1, s1
	ds_bpermute_b32 v3, v3, v2
	s_wait_dscnt 0x0
	v_add_f32_e32 v2, v2, v3
	ds_bpermute_b32 v3, v8, v2
	s_wait_dscnt 0x0
	v_add_f32_e32 v2, v2, v3
	;; [unrolled: 3-line block ×4, first 2 shown]
	ds_bpermute_b32 v3, v11, v2
	s_and_saveexec_b32 s0, s1
	s_cbranch_execz .LBB14_45
; %bb.44:
	s_wait_dscnt 0x0
	v_add_f32_e32 v2, v2, v3
	s_delay_alu instid0(VALU_DEP_1) | instskip(NEXT) | instid1(VALU_DEP_1)
	v_div_scale_f32 v3, null, v2, v2, 1.0
	v_rcp_f32_e32 v6, v3
	v_nop
	s_delay_alu instid0(TRANS32_DEP_1) | instskip(NEXT) | instid1(VALU_DEP_1)
	v_fma_f32 v7, -v3, v6, 1.0
	v_fmac_f32_e32 v6, v7, v6
	v_div_scale_f32 v7, vcc_lo, 1.0, v2, 1.0
	s_delay_alu instid0(VALU_DEP_1) | instskip(NEXT) | instid1(VALU_DEP_1)
	v_mul_f32_e32 v8, v7, v6
	v_fma_f32 v9, -v3, v8, v7
	s_delay_alu instid0(VALU_DEP_1) | instskip(NEXT) | instid1(VALU_DEP_1)
	v_fmac_f32_e32 v8, v9, v6
	v_fma_f32 v3, -v3, v8, v7
	s_delay_alu instid0(VALU_DEP_1) | instskip(NEXT) | instid1(VALU_DEP_1)
	v_div_fmas_f32 v3, v3, v6, v8
	v_div_fixup_f32 v2, v3, v2, 1.0
	s_delay_alu instid0(VALU_DEP_1)
	v_mul_f32_e32 v6, v1, v2
.LBB14_45:
	s_or_b32 exec_lo, exec_lo, s0
	v_cmp_gt_i32_e32 vcc_lo, s5, v5
	s_and_b32 exec_lo, exec_lo, vcc_lo
	s_cbranch_execnz .LBB14_40
	s_branch .LBB14_41
	.section	.rodata,"a",@progbits
	.p2align	6, 0x0
	.amdhsa_kernel _Z13topk_moe_cudaILi8ELb0EEvPKfPfPiS2_iiff15topk_moe_config
		.amdhsa_group_segment_fixed_size 0
		.amdhsa_private_segment_fixed_size 0
		.amdhsa_kernarg_size 312
		.amdhsa_user_sgpr_count 2
		.amdhsa_user_sgpr_dispatch_ptr 0
		.amdhsa_user_sgpr_queue_ptr 0
		.amdhsa_user_sgpr_kernarg_segment_ptr 1
		.amdhsa_user_sgpr_dispatch_id 0
		.amdhsa_user_sgpr_kernarg_preload_length 0
		.amdhsa_user_sgpr_kernarg_preload_offset 0
		.amdhsa_user_sgpr_private_segment_size 0
		.amdhsa_wavefront_size32 1
		.amdhsa_uses_dynamic_stack 0
		.amdhsa_enable_private_segment 0
		.amdhsa_system_sgpr_workgroup_id_x 1
		.amdhsa_system_sgpr_workgroup_id_y 0
		.amdhsa_system_sgpr_workgroup_id_z 0
		.amdhsa_system_sgpr_workgroup_info 0
		.amdhsa_system_vgpr_workitem_id 1
		.amdhsa_next_free_vgpr 19
		.amdhsa_next_free_sgpr 12
		.amdhsa_named_barrier_count 0
		.amdhsa_reserve_vcc 1
		.amdhsa_float_round_mode_32 0
		.amdhsa_float_round_mode_16_64 0
		.amdhsa_float_denorm_mode_32 3
		.amdhsa_float_denorm_mode_16_64 3
		.amdhsa_fp16_overflow 0
		.amdhsa_memory_ordered 1
		.amdhsa_forward_progress 1
		.amdhsa_inst_pref_size 24
		.amdhsa_round_robin_scheduling 0
		.amdhsa_exception_fp_ieee_invalid_op 0
		.amdhsa_exception_fp_denorm_src 0
		.amdhsa_exception_fp_ieee_div_zero 0
		.amdhsa_exception_fp_ieee_overflow 0
		.amdhsa_exception_fp_ieee_underflow 0
		.amdhsa_exception_fp_ieee_inexact 0
		.amdhsa_exception_int_div_zero 0
	.end_amdhsa_kernel
	.section	.text._Z13topk_moe_cudaILi8ELb0EEvPKfPfPiS2_iiff15topk_moe_config,"axG",@progbits,_Z13topk_moe_cudaILi8ELb0EEvPKfPfPiS2_iiff15topk_moe_config,comdat
.Lfunc_end14:
	.size	_Z13topk_moe_cudaILi8ELb0EEvPKfPfPiS2_iiff15topk_moe_config, .Lfunc_end14-_Z13topk_moe_cudaILi8ELb0EEvPKfPfPiS2_iiff15topk_moe_config
                                        ; -- End function
	.set _Z13topk_moe_cudaILi8ELb0EEvPKfPfPiS2_iiff15topk_moe_config.num_vgpr, 19
	.set _Z13topk_moe_cudaILi8ELb0EEvPKfPfPiS2_iiff15topk_moe_config.num_agpr, 0
	.set _Z13topk_moe_cudaILi8ELb0EEvPKfPfPiS2_iiff15topk_moe_config.numbered_sgpr, 12
	.set _Z13topk_moe_cudaILi8ELb0EEvPKfPfPiS2_iiff15topk_moe_config.num_named_barrier, 0
	.set _Z13topk_moe_cudaILi8ELb0EEvPKfPfPiS2_iiff15topk_moe_config.private_seg_size, 0
	.set _Z13topk_moe_cudaILi8ELb0EEvPKfPfPiS2_iiff15topk_moe_config.uses_vcc, 1
	.set _Z13topk_moe_cudaILi8ELb0EEvPKfPfPiS2_iiff15topk_moe_config.uses_flat_scratch, 0
	.set _Z13topk_moe_cudaILi8ELb0EEvPKfPfPiS2_iiff15topk_moe_config.has_dyn_sized_stack, 0
	.set _Z13topk_moe_cudaILi8ELb0EEvPKfPfPiS2_iiff15topk_moe_config.has_recursion, 0
	.set _Z13topk_moe_cudaILi8ELb0EEvPKfPfPiS2_iiff15topk_moe_config.has_indirect_call, 0
	.section	.AMDGPU.csdata,"",@progbits
; Kernel info:
; codeLenInByte = 2956
; TotalNumSgprs: 14
; NumVgprs: 19
; ScratchSize: 0
; MemoryBound: 0
; FloatMode: 240
; IeeeMode: 1
; LDSByteSize: 0 bytes/workgroup (compile time only)
; SGPRBlocks: 0
; VGPRBlocks: 1
; NumSGPRsForWavesPerEU: 14
; NumVGPRsForWavesPerEU: 19
; NamedBarCnt: 0
; Occupancy: 16
; WaveLimiterHint : 0
; COMPUTE_PGM_RSRC2:SCRATCH_EN: 0
; COMPUTE_PGM_RSRC2:USER_SGPR: 2
; COMPUTE_PGM_RSRC2:TRAP_HANDLER: 0
; COMPUTE_PGM_RSRC2:TGID_X_EN: 1
; COMPUTE_PGM_RSRC2:TGID_Y_EN: 0
; COMPUTE_PGM_RSRC2:TGID_Z_EN: 0
; COMPUTE_PGM_RSRC2:TIDIG_COMP_CNT: 1
	.section	.text._Z13topk_moe_cudaILi16ELb0EEvPKfPfPiS2_iiff15topk_moe_config,"axG",@progbits,_Z13topk_moe_cudaILi16ELb0EEvPKfPfPiS2_iiff15topk_moe_config,comdat
	.protected	_Z13topk_moe_cudaILi16ELb0EEvPKfPfPiS2_iiff15topk_moe_config ; -- Begin function _Z13topk_moe_cudaILi16ELb0EEvPKfPfPiS2_iiff15topk_moe_config
	.globl	_Z13topk_moe_cudaILi16ELb0EEvPKfPfPiS2_iiff15topk_moe_config
	.p2align	8
	.type	_Z13topk_moe_cudaILi16ELb0EEvPKfPfPiS2_iiff15topk_moe_config,@function
_Z13topk_moe_cudaILi16ELb0EEvPKfPfPiS2_iiff15topk_moe_config: ; @_Z13topk_moe_cudaILi16ELb0EEvPKfPfPiS2_iiff15topk_moe_config
; %bb.0:
	s_clause 0x1
	s_load_u16 s2, s[0:1], 0x46
	s_load_b128 s[4:7], s[0:1], 0x20
	s_bfe_u32 s3, ttmp6, 0x4000c
	s_and_b32 s8, ttmp6, 15
	s_add_co_i32 s3, s3, 1
	v_bfe_u32 v1, v0, 10, 10
	s_mul_i32 s3, ttmp9, s3
	s_delay_alu instid0(SALU_CYCLE_1) | instskip(SKIP_1) | instid1(SALU_CYCLE_1)
	s_add_co_i32 s8, s8, s3
	s_getreg_b32 s3, hwreg(HW_REG_IB_STS2, 6, 4)
	s_cmp_eq_u32 s3, 0
	s_cselect_b32 s3, ttmp9, s8
	s_wait_kmcnt 0x0
	v_mad_u32 v4, s3, s2, v1
	s_mov_b32 s2, exec_lo
	s_delay_alu instid0(VALU_DEP_1)
	v_cmpx_gt_i32_e64 s4, v4
	s_cbranch_execz .LBB15_41
; %bb.1:
	v_dual_mov_b32 v1, 0 :: v_dual_lshlrev_b32 v2, 4, v4
	v_and_b32_e32 v5, 0x3ff, v0
	v_mov_b32_e32 v8, 0xff800000
	s_clause 0x1
	global_load_u16 v6, v1, s[0:1] offset:48
	global_load_i8 v7, v1, s[0:1] offset:50
	s_clause 0x1
	s_load_b128 s[8:11], s[0:1], 0x0
	s_load_b64 s[2:3], s[0:1], 0x10
	v_dual_ashrrev_i32 v3, 31, v2 :: v_dual_lshlrev_b32 v0, 2, v5
	s_wait_xcnt 0x0
	s_mov_b32 s0, exec_lo
	s_wait_loadcnt 0x1
	v_readfirstlane_b32 s1, v6
	v_cmpx_gt_u32_e32 16, v5
	s_cbranch_execz .LBB15_3
; %bb.2:
	s_wait_kmcnt 0x0
	v_lshl_add_u64 v[8:9], v[2:3], 2, s[8:9]
	s_delay_alu instid0(VALU_DEP_1)
	v_add_nc_u64_e32 v[8:9], v[8:9], v[0:1]
	global_load_b32 v8, v[8:9], off
.LBB15_3:
	s_wait_xcnt 0x0
	s_or_b32 exec_lo, exec_lo, s0
	s_wait_loadcnt 0x0
	v_and_b32_e32 v1, 1, v7
	s_delay_alu instid0(VALU_DEP_1)
	v_cmp_eq_u32_e64 s0, 1, v1
	s_and_b32 vcc_lo, exec_lo, s0
	s_cbranch_vccnz .LBB15_9
; %bb.4:
	v_and_b32_e32 v1, 1, v6
	s_mov_b32 s4, 0
	s_delay_alu instid0(VALU_DEP_1)
	v_cmp_eq_u32_e32 vcc_lo, 0, v1
	s_cbranch_vccz .LBB15_6
; %bb.5:
	v_mbcnt_lo_u32_b32 v1, -1, 0
	s_delay_alu instid0(VALU_DEP_1) | instskip(SKIP_3) | instid1(VALU_DEP_4)
	v_dual_max_num_f32 v7, v8, v8 :: v_dual_bitop2_b32 v6, 16, v1 bitop3:0x14
	v_xor_b32_e32 v12, 2, v1
	v_xor_b32_e32 v11, 4, v1
	;; [unrolled: 1-line block ×3, first 2 shown]
	v_max_num_f32_e32 v7, 0xff800000, v7
	v_cmp_gt_i32_e32 vcc_lo, 32, v6
	v_dual_cndmask_b32 v6, v1, v6, vcc_lo :: v_dual_bitop2_b32 v10, 8, v1 bitop3:0x14
	s_delay_alu instid0(VALU_DEP_1) | instskip(NEXT) | instid1(VALU_DEP_2)
	v_cmp_gt_i32_e32 vcc_lo, 32, v10
	v_lshlrev_b32_e32 v6, 2, v6
	ds_bpermute_b32 v9, v6, v7
	s_wait_dscnt 0x0
	v_max_num_f32_e32 v9, v9, v9
	v_cndmask_b32_e32 v10, v1, v10, vcc_lo
	v_cmp_gt_i32_e32 vcc_lo, 32, v11
	s_delay_alu instid0(VALU_DEP_2)
	v_dual_max_num_f32 v7, v7, v9 :: v_dual_lshlrev_b32 v10, 2, v10
	ds_bpermute_b32 v9, v10, v7
	s_wait_dscnt 0x0
	v_max_num_f32_e32 v9, v9, v9
	v_cndmask_b32_e32 v11, v1, v11, vcc_lo
	v_cmp_gt_i32_e32 vcc_lo, 32, v12
	s_delay_alu instid0(VALU_DEP_2) | instskip(SKIP_4) | instid1(VALU_DEP_1)
	v_dual_max_num_f32 v7, v7, v9 :: v_dual_lshlrev_b32 v11, 2, v11
	v_cndmask_b32_e32 v12, v1, v12, vcc_lo
	v_cmp_gt_i32_e32 vcc_lo, 32, v13
	ds_bpermute_b32 v9, v11, v7
	v_dual_cndmask_b32 v1, v1, v13 :: v_dual_lshlrev_b32 v12, 2, v12
	v_lshlrev_b32_e32 v1, 2, v1
	s_wait_dscnt 0x0
	v_max_num_f32_e32 v9, v9, v9
	s_delay_alu instid0(VALU_DEP_1) | instskip(SKIP_3) | instid1(VALU_DEP_1)
	v_max_num_f32_e32 v7, v7, v9
	ds_bpermute_b32 v9, v12, v7
	s_wait_dscnt 0x0
	v_max_num_f32_e32 v9, v9, v9
	v_max_num_f32_e32 v7, v7, v9
	ds_bpermute_b32 v9, v1, v7
	s_wait_dscnt 0x0
	v_max_num_f32_e32 v9, v9, v9
	s_delay_alu instid0(VALU_DEP_1) | instskip(NEXT) | instid1(VALU_DEP_1)
	v_max_num_f32_e32 v7, v7, v9
	v_sub_f32_e32 v7, v8, v7
	s_delay_alu instid0(VALU_DEP_1) | instskip(SKIP_1) | instid1(VALU_DEP_2)
	v_mul_f32_e32 v9, 0x3fb8aa3b, v7
	v_cmp_ngt_f32_e32 vcc_lo, 0xc2ce8ed0, v7
	v_fma_f32 v13, 0x3fb8aa3b, v7, -v9
	v_rndne_f32_e32 v14, v9
	s_delay_alu instid0(VALU_DEP_2) | instskip(NEXT) | instid1(VALU_DEP_2)
	v_fmamk_f32 v13, v7, 0x32a5705f, v13
	v_sub_f32_e32 v9, v9, v14
	s_delay_alu instid0(VALU_DEP_1) | instskip(SKIP_1) | instid1(VALU_DEP_2)
	v_add_f32_e32 v9, v9, v13
	v_cvt_i32_f32_e32 v13, v14
	v_exp_f32_e32 v9, v9
	v_nop
	s_delay_alu instid0(TRANS32_DEP_1) | instskip(NEXT) | instid1(VALU_DEP_1)
	v_ldexp_f32 v9, v9, v13
	v_cndmask_b32_e32 v9, 0, v9, vcc_lo
	v_cmp_nlt_f32_e32 vcc_lo, 0x42b17218, v7
	s_delay_alu instid0(VALU_DEP_2)
	v_cndmask_b32_e32 v7, 0x7f800000, v9, vcc_lo
	ds_bpermute_b32 v6, v6, v7
	s_wait_dscnt 0x0
	v_add_f32_e32 v6, v7, v6
	ds_bpermute_b32 v9, v10, v6
	s_wait_dscnt 0x0
	v_add_f32_e32 v6, v6, v9
	;; [unrolled: 3-line block ×5, first 2 shown]
	s_delay_alu instid0(VALU_DEP_1) | instskip(NEXT) | instid1(VALU_DEP_1)
	v_div_scale_f32 v6, null, v1, v1, 1.0
	v_rcp_f32_e32 v9, v6
	v_nop
	s_delay_alu instid0(TRANS32_DEP_1) | instskip(NEXT) | instid1(VALU_DEP_1)
	v_fma_f32 v10, -v6, v9, 1.0
	v_fmac_f32_e32 v9, v10, v9
	v_div_scale_f32 v10, vcc_lo, 1.0, v1, 1.0
	s_delay_alu instid0(VALU_DEP_1) | instskip(NEXT) | instid1(VALU_DEP_1)
	v_mul_f32_e32 v11, v10, v9
	v_fma_f32 v12, -v6, v11, v10
	s_delay_alu instid0(VALU_DEP_1) | instskip(NEXT) | instid1(VALU_DEP_1)
	v_fmac_f32_e32 v11, v12, v9
	v_fma_f32 v6, -v6, v11, v10
	s_delay_alu instid0(VALU_DEP_1) | instskip(NEXT) | instid1(VALU_DEP_1)
	v_div_fmas_f32 v6, v6, v9, v11
	v_div_fixup_f32 v1, v6, v1, 1.0
	s_delay_alu instid0(VALU_DEP_1)
	v_mul_f32_e32 v1, v7, v1
	s_and_not1_b32 vcc_lo, exec_lo, s4
	s_cbranch_vccz .LBB15_7
	s_branch .LBB15_8
.LBB15_6:
                                        ; implicit-def: $vgpr1
.LBB15_7:
	v_mul_f32_e32 v1, 0xbfb8aa3b, v8
	v_cmp_nlt_f32_e32 vcc_lo, 0x42ce8ed0, v8
	s_delay_alu instid0(VALU_DEP_2) | instskip(SKIP_1) | instid1(VALU_DEP_2)
	v_rndne_f32_e32 v6, v1
	v_fma_f32 v7, 0xbfb8aa3b, v8, -v1
	v_sub_f32_e32 v1, v1, v6
	s_delay_alu instid0(VALU_DEP_2) | instskip(SKIP_1) | instid1(VALU_DEP_2)
	v_fmamk_f32 v7, v8, 0xb2a5705f, v7
	v_cvt_i32_f32_e32 v6, v6
	v_add_f32_e32 v1, v1, v7
	s_delay_alu instid0(VALU_DEP_1) | instskip(SKIP_1) | instid1(TRANS32_DEP_1)
	v_exp_f32_e32 v1, v1
	v_nop
	v_ldexp_f32 v1, v1, v6
	s_delay_alu instid0(VALU_DEP_1) | instskip(SKIP_1) | instid1(VALU_DEP_2)
	v_cndmask_b32_e32 v1, 0, v1, vcc_lo
	v_cmp_ngt_f32_e32 vcc_lo, 0xc2b17218, v8
	v_cndmask_b32_e32 v1, 0x7f800000, v1, vcc_lo
	s_delay_alu instid0(VALU_DEP_1) | instskip(NEXT) | instid1(VALU_DEP_1)
	v_add_f32_e32 v1, 1.0, v1
	v_div_scale_f32 v6, null, v1, v1, 1.0
	s_delay_alu instid0(VALU_DEP_1) | instskip(SKIP_1) | instid1(TRANS32_DEP_1)
	v_rcp_f32_e32 v7, v6
	v_nop
	v_fma_f32 v8, -v6, v7, 1.0
	s_delay_alu instid0(VALU_DEP_1) | instskip(SKIP_1) | instid1(VALU_DEP_1)
	v_fmac_f32_e32 v7, v8, v7
	v_div_scale_f32 v8, vcc_lo, 1.0, v1, 1.0
	v_mul_f32_e32 v9, v8, v7
	s_delay_alu instid0(VALU_DEP_1) | instskip(NEXT) | instid1(VALU_DEP_1)
	v_fma_f32 v10, -v6, v9, v8
	v_fmac_f32_e32 v9, v10, v7
	s_delay_alu instid0(VALU_DEP_1) | instskip(NEXT) | instid1(VALU_DEP_1)
	v_fma_f32 v6, -v6, v9, v8
	v_div_fmas_f32 v6, v6, v7, v9
	s_delay_alu instid0(VALU_DEP_1)
	v_div_fixup_f32 v1, v6, v1, 1.0
.LBB15_8:
	s_delay_alu instid0(VALU_DEP_1)
	v_mov_b32_e32 v8, v1
.LBB15_9:
	s_lshr_b32 s1, s1, 8
	s_cmp_gt_i32 s5, 0
	s_wait_kmcnt 0x0
	s_mov_b32 s8, 0
	s_cbranch_scc1 .LBB15_11
; %bb.10:
	s_bitcmp1_b32 s1, 0
	s_cselect_b32 s4, -1, 0
	s_branch .LBB15_12
.LBB15_11:
	s_mov_b32 s8, -1
                                        ; implicit-def: $sgpr4
.LBB15_12:
	v_dual_mov_b32 v7, 0 :: v_dual_mov_b32 v6, 0
	v_mbcnt_lo_u32_b32 v1, -1, 0
	s_and_not1_b32 vcc_lo, exec_lo, s8
	s_cbranch_vccnz .LBB15_37
; %bb.13:
	v_cmp_o_f32_e32 vcc_lo, v8, v8
	s_delay_alu instid0(VALU_DEP_2)
	v_xor_b32_e32 v7, 8, v1
	v_xor_b32_e32 v6, 16, v1
	v_lshl_add_u64 v[2:3], v[2:3], 2, s[2:3]
	s_bitcmp1_b32 s1, 0
	v_cndmask_b32_e32 v8, 0xff7fffff, v8, vcc_lo
	s_mov_b32 s2, 0
	v_cmp_gt_i32_e32 vcc_lo, 32, v6
	s_cselect_b32 s4, -1, 0
	v_cndmask_b32_e32 v6, v1, v6, vcc_lo
	v_cmp_gt_i32_e32 vcc_lo, 32, v7
	v_dual_cndmask_b32 v7, v1, v7, vcc_lo :: v_dual_bitop2_b32 v11, 1, v1 bitop3:0x14
	v_xor_b32_e32 v10, 2, v1
	v_xor_b32_e32 v9, 4, v1
	s_delay_alu instid0(VALU_DEP_1) | instskip(SKIP_1) | instid1(VALU_DEP_4)
	v_cmp_gt_i32_e32 vcc_lo, 32, v9
	v_cndmask_b32_e32 v12, v1, v9, vcc_lo
	v_cmp_gt_i32_e32 vcc_lo, 32, v10
	v_dual_mov_b32 v6, 0 :: v_dual_lshlrev_b32 v9, 2, v6
	v_dual_cndmask_b32 v13, v1, v10 :: v_dual_lshlrev_b32 v10, 2, v7
	v_cmp_gt_i32_e32 vcc_lo, 32, v11
	v_dual_mov_b32 v7, 0 :: v_dual_cndmask_b32 v14, v1, v11
	s_delay_alu instid0(VALU_DEP_3) | instskip(NEXT) | instid1(VALU_DEP_2)
	v_dual_lshlrev_b32 v11, 2, v12 :: v_dual_lshlrev_b32 v12, 2, v13
	v_lshlrev_b32_e32 v13, 2, v14
	s_branch .LBB15_15
.LBB15_14:                              ;   in Loop: Header=BB15_15 Depth=1
	s_wait_xcnt 0x0
	s_or_b32 exec_lo, exec_lo, s1
	s_and_b32 s1, s2, 31
	v_cndmask_b32_e64 v8, v8, 0xff800000, vcc_lo
	v_cmp_eq_u32_e32 vcc_lo, s1, v5
	v_add_nc_u64_e32 v[2:3], 4, v[2:3]
	s_add_co_i32 s2, s2, 1
	s_delay_alu instid0(SALU_CYCLE_1)
	s_cmp_eq_u32 s5, s2
	v_cndmask_b32_e32 v6, v6, v14, vcc_lo
	s_cbranch_scc1 .LBB15_37
.LBB15_15:                              ; =>This Inner Loop Header: Depth=1
	s_wait_dscnt 0x0
	ds_bpermute_b32 v17, v9, v8
	ds_bpermute_b32 v18, v9, v5
	s_mov_b32 s8, exec_lo
	s_wait_dscnt 0x1
	v_cmp_lt_f32_e64 s3, v8, v17
	v_cmpx_nlt_f32_e32 v8, v17
	s_cbranch_execz .LBB15_17
; %bb.16:                               ;   in Loop: Header=BB15_15 Depth=1
	v_cmp_eq_f32_e32 vcc_lo, v8, v17
	s_wait_dscnt 0x0
	v_cmp_lt_i32_e64 s1, v18, v5
	s_and_not1_b32 s3, s3, exec_lo
	s_and_b32 s1, vcc_lo, s1
	s_delay_alu instid0(SALU_CYCLE_1) | instskip(NEXT) | instid1(SALU_CYCLE_1)
	s_and_b32 s1, s1, exec_lo
	s_or_b32 s3, s3, s1
.LBB15_17:                              ;   in Loop: Header=BB15_15 Depth=1
	s_or_b32 exec_lo, exec_lo, s8
	v_dual_mov_b32 v16, v8 :: v_dual_mov_b32 v14, v8
	v_mov_b32_e32 v15, v5
	s_and_saveexec_b32 s1, s3
	s_cbranch_execz .LBB15_19
; %bb.18:                               ;   in Loop: Header=BB15_15 Depth=1
	v_dual_mov_b32 v16, v17 :: v_dual_mov_b32 v14, v17
	s_wait_dscnt 0x0
	v_mov_b32_e32 v15, v18
.LBB15_19:                              ;   in Loop: Header=BB15_15 Depth=1
	s_or_b32 exec_lo, exec_lo, s1
	ds_bpermute_b32 v17, v10, v16
	s_wait_dscnt 0x1
	ds_bpermute_b32 v18, v10, v15
	s_mov_b32 s8, exec_lo
	s_wait_dscnt 0x1
	v_cmp_lt_f32_e64 s3, v14, v17
	v_cmpx_nlt_f32_e32 v14, v17
	s_cbranch_execz .LBB15_21
; %bb.20:                               ;   in Loop: Header=BB15_15 Depth=1
	v_cmp_eq_f32_e32 vcc_lo, v14, v17
	s_wait_dscnt 0x0
	v_cmp_lt_i32_e64 s1, v18, v15
	s_and_not1_b32 s3, s3, exec_lo
	s_and_b32 s1, vcc_lo, s1
	s_delay_alu instid0(SALU_CYCLE_1) | instskip(NEXT) | instid1(SALU_CYCLE_1)
	s_and_b32 s1, s1, exec_lo
	s_or_b32 s3, s3, s1
.LBB15_21:                              ;   in Loop: Header=BB15_15 Depth=1
	s_or_b32 exec_lo, exec_lo, s8
	s_and_saveexec_b32 s1, s3
	s_cbranch_execz .LBB15_23
; %bb.22:                               ;   in Loop: Header=BB15_15 Depth=1
	v_dual_mov_b32 v16, v17 :: v_dual_mov_b32 v14, v17
	s_wait_dscnt 0x0
	v_mov_b32_e32 v15, v18
.LBB15_23:                              ;   in Loop: Header=BB15_15 Depth=1
	s_or_b32 exec_lo, exec_lo, s1
	ds_bpermute_b32 v17, v11, v16
	s_wait_dscnt 0x1
	ds_bpermute_b32 v18, v11, v15
	s_mov_b32 s8, exec_lo
	s_wait_dscnt 0x1
	v_cmp_lt_f32_e64 s3, v14, v17
	v_cmpx_nlt_f32_e32 v14, v17
	s_cbranch_execz .LBB15_25
; %bb.24:                               ;   in Loop: Header=BB15_15 Depth=1
	v_cmp_eq_f32_e32 vcc_lo, v14, v17
	s_wait_dscnt 0x0
	v_cmp_lt_i32_e64 s1, v18, v15
	s_and_not1_b32 s3, s3, exec_lo
	s_and_b32 s1, vcc_lo, s1
	s_delay_alu instid0(SALU_CYCLE_1) | instskip(NEXT) | instid1(SALU_CYCLE_1)
	s_and_b32 s1, s1, exec_lo
	s_or_b32 s3, s3, s1
.LBB15_25:                              ;   in Loop: Header=BB15_15 Depth=1
	s_or_b32 exec_lo, exec_lo, s8
	;; [unrolled: 27-line block ×3, first 2 shown]
	s_and_saveexec_b32 s1, s3
	s_cbranch_execz .LBB15_31
; %bb.30:                               ;   in Loop: Header=BB15_15 Depth=1
	v_dual_mov_b32 v16, v17 :: v_dual_mov_b32 v14, v17
	s_wait_dscnt 0x0
	v_mov_b32_e32 v15, v18
.LBB15_31:                              ;   in Loop: Header=BB15_15 Depth=1
	s_or_b32 exec_lo, exec_lo, s1
	ds_bpermute_b32 v16, v13, v16
	ds_bpermute_b32 v17, v13, v15
	s_mov_b32 s8, exec_lo
	s_wait_dscnt 0x1
	v_cmp_lt_f32_e64 s3, v14, v16
	v_cmpx_nlt_f32_e32 v14, v16
	s_cbranch_execz .LBB15_33
; %bb.32:                               ;   in Loop: Header=BB15_15 Depth=1
	v_cmp_eq_f32_e32 vcc_lo, v14, v16
	s_wait_dscnt 0x0
	v_cmp_lt_i32_e64 s1, v17, v15
	s_and_not1_b32 s3, s3, exec_lo
	s_and_b32 s1, vcc_lo, s1
	s_delay_alu instid0(SALU_CYCLE_1) | instskip(NEXT) | instid1(SALU_CYCLE_1)
	s_and_b32 s1, s1, exec_lo
	s_or_b32 s3, s3, s1
.LBB15_33:                              ;   in Loop: Header=BB15_15 Depth=1
	s_or_b32 exec_lo, exec_lo, s8
	s_and_saveexec_b32 s1, s3
	s_cbranch_execz .LBB15_35
; %bb.34:                               ;   in Loop: Header=BB15_15 Depth=1
	s_wait_dscnt 0x0
	v_dual_mov_b32 v14, v16 :: v_dual_mov_b32 v15, v17
.LBB15_35:                              ;   in Loop: Header=BB15_15 Depth=1
	s_or_b32 exec_lo, exec_lo, s1
	s_delay_alu instid0(VALU_DEP_1) | instskip(NEXT) | instid1(VALU_DEP_1)
	v_and_b32_e32 v16, 31, v15
	v_cmp_eq_u32_e32 vcc_lo, v16, v5
	s_and_saveexec_b32 s1, vcc_lo
	s_cbranch_execz .LBB15_14
; %bb.36:                               ;   in Loop: Header=BB15_15 Depth=1
	v_add_f32_e32 v16, v7, v14
	global_store_b32 v[2:3], v15, off
	v_cndmask_b32_e64 v7, v7, v16, s4
	s_branch .LBB15_14
.LBB15_37:
	s_and_b32 vcc_lo, exec_lo, s4
	s_cbranch_vccnz .LBB15_42
; %bb.38:
	v_cmp_gt_i32_e64 s1, s5, v5
	s_and_not1_b32 vcc_lo, exec_lo, s0
	s_cbranch_vccz .LBB15_43
.LBB15_39:
	v_cmp_gt_i32_e32 vcc_lo, s5, v5
	s_and_b32 exec_lo, exec_lo, vcc_lo
	s_cbranch_execz .LBB15_41
.LBB15_40:
	v_mul_lo_u32 v2, v4, s5
	s_wait_dscnt 0x0
	s_delay_alu instid0(VALU_DEP_1) | instskip(NEXT) | instid1(VALU_DEP_1)
	v_dual_mov_b32 v1, 0 :: v_dual_ashrrev_i32 v3, 31, v2
	v_lshl_add_u64 v[2:3], v[2:3], 2, s[10:11]
	s_delay_alu instid0(VALU_DEP_1)
	v_add_nc_u64_e32 v[0:1], v[2:3], v[0:1]
	v_mul_f32_e32 v2, s7, v6
	global_store_b32 v[0:1], v2, off
.LBB15_41:
	s_endpgm
.LBB15_42:
	v_xor_b32_e32 v3, 8, v1
	v_xor_b32_e32 v2, 16, v1
	s_delay_alu instid0(VALU_DEP_1) | instskip(SKIP_1) | instid1(VALU_DEP_4)
	v_cmp_gt_i32_e32 vcc_lo, 32, v2
	v_cndmask_b32_e32 v2, v1, v2, vcc_lo
	v_cmp_gt_i32_e32 vcc_lo, 32, v3
	v_cndmask_b32_e32 v3, v1, v3, vcc_lo
	s_delay_alu instid0(VALU_DEP_1)
	v_dual_lshlrev_b32 v3, 2, v3 :: v_dual_lshlrev_b32 v2, 2, v2
	ds_bpermute_b32 v2, v2, v7
	s_wait_dscnt 0x0
	v_dual_add_f32 v2, v7, v2 :: v_dual_bitop2_b32 v7, 4, v1 bitop3:0x14
	ds_bpermute_b32 v3, v3, v2
	v_cmp_gt_i32_e32 vcc_lo, 32, v7
	v_cndmask_b32_e32 v7, v1, v7, vcc_lo
	s_delay_alu instid0(VALU_DEP_1) | instskip(SKIP_4) | instid1(VALU_DEP_1)
	v_lshlrev_b32_e32 v7, 2, v7
	s_wait_dscnt 0x0
	v_add_f32_e32 v2, v2, v3
	ds_bpermute_b32 v3, v7, v2
	v_xor_b32_e32 v7, 2, v1
	v_cmp_gt_i32_e32 vcc_lo, 32, v7
	v_cndmask_b32_e32 v7, v1, v7, vcc_lo
	s_delay_alu instid0(VALU_DEP_1) | instskip(SKIP_4) | instid1(VALU_DEP_1)
	v_lshlrev_b32_e32 v7, 2, v7
	s_wait_dscnt 0x0
	v_add_f32_e32 v2, v2, v3
	ds_bpermute_b32 v3, v7, v2
	v_xor_b32_e32 v7, 1, v1
	v_cmp_gt_i32_e32 vcc_lo, 32, v7
	v_cndmask_b32_e32 v7, v1, v7, vcc_lo
	s_delay_alu instid0(VALU_DEP_1)
	v_lshlrev_b32_e32 v7, 2, v7
	s_wait_dscnt 0x0
	v_add_f32_e32 v2, v2, v3
	ds_bpermute_b32 v3, v7, v2
	v_max_num_f32_e64 v7, s6, s6
	s_wait_dscnt 0x0
	v_add_f32_e32 v2, v2, v3
	s_delay_alu instid0(VALU_DEP_1) | instskip(NEXT) | instid1(VALU_DEP_1)
	v_max_num_f32_e32 v2, v2, v7
	v_div_scale_f32 v3, null, v2, v2, 1.0
	s_delay_alu instid0(VALU_DEP_1) | instskip(SKIP_1) | instid1(TRANS32_DEP_1)
	v_rcp_f32_e32 v7, v3
	v_nop
	v_fma_f32 v8, -v3, v7, 1.0
	s_delay_alu instid0(VALU_DEP_1) | instskip(SKIP_1) | instid1(VALU_DEP_1)
	v_fmac_f32_e32 v7, v8, v7
	v_div_scale_f32 v8, vcc_lo, 1.0, v2, 1.0
	v_mul_f32_e32 v9, v8, v7
	s_delay_alu instid0(VALU_DEP_1) | instskip(NEXT) | instid1(VALU_DEP_1)
	v_fma_f32 v10, -v3, v9, v8
	v_fmac_f32_e32 v9, v10, v7
	s_delay_alu instid0(VALU_DEP_1) | instskip(NEXT) | instid1(VALU_DEP_1)
	v_fma_f32 v3, -v3, v9, v8
	v_div_fmas_f32 v3, v3, v7, v9
	s_delay_alu instid0(VALU_DEP_1) | instskip(NEXT) | instid1(VALU_DEP_1)
	v_div_fixup_f32 v2, v3, v2, 1.0
	v_mul_f32_e32 v6, v2, v6
	v_cmp_gt_i32_e64 s1, s5, v5
	s_and_not1_b32 vcc_lo, exec_lo, s0
	s_cbranch_vccnz .LBB15_39
.LBB15_43:
	v_dual_max_num_f32 v2, v6, v6 :: v_dual_bitop2_b32 v3, 16, v1 bitop3:0x14
	v_xor_b32_e32 v10, 2, v1
	v_xor_b32_e32 v8, 8, v1
	s_delay_alu instid0(VALU_DEP_3) | instskip(NEXT) | instid1(VALU_DEP_4)
	v_cmp_gt_i32_e32 vcc_lo, 32, v3
	v_dual_max_num_f32 v2, 0xff800000, v2 :: v_dual_cndmask_b32 v3, v1, v3
	s_delay_alu instid0(VALU_DEP_1) | instskip(NEXT) | instid1(VALU_DEP_4)
	v_cndmask_b32_e64 v2, 0xff800000, v2, s1
	v_cmp_gt_i32_e32 vcc_lo, 32, v8
	s_delay_alu instid0(VALU_DEP_3) | instskip(SKIP_3) | instid1(VALU_DEP_1)
	v_lshlrev_b32_e32 v3, 2, v3
	ds_bpermute_b32 v7, v3, v2
	s_wait_dscnt 0x0
	v_dual_cndmask_b32 v8, v1, v8 :: v_dual_max_num_f32 v7, v7, v7
	v_dual_lshlrev_b32 v8, 2, v8 :: v_dual_max_num_f32 v2, v2, v7
	ds_bpermute_b32 v7, v8, v2
	s_wait_dscnt 0x0
	v_dual_max_num_f32 v7, v7, v7 :: v_dual_bitop2_b32 v9, 4, v1 bitop3:0x14
	s_delay_alu instid0(VALU_DEP_1) | instskip(NEXT) | instid1(VALU_DEP_2)
	v_cmp_gt_i32_e32 vcc_lo, 32, v9
	v_dual_max_num_f32 v2, v2, v7 :: v_dual_cndmask_b32 v9, v1, v9
	v_cmp_gt_i32_e32 vcc_lo, 32, v10
	s_delay_alu instid0(VALU_DEP_2) | instskip(SKIP_3) | instid1(VALU_DEP_1)
	v_dual_cndmask_b32 v10, v1, v10 :: v_dual_lshlrev_b32 v9, 2, v9
	ds_bpermute_b32 v7, v9, v2
	s_wait_dscnt 0x0
	v_dual_max_num_f32 v7, v7, v7 :: v_dual_lshlrev_b32 v10, 2, v10
	v_max_num_f32_e32 v2, v2, v7
	ds_bpermute_b32 v7, v10, v2
	s_wait_dscnt 0x0
	v_dual_max_num_f32 v7, v7, v7 :: v_dual_bitop2_b32 v11, 1, v1 bitop3:0x14
	s_delay_alu instid0(VALU_DEP_1) | instskip(SKIP_1) | instid1(VALU_DEP_1)
	v_cmp_gt_i32_e32 vcc_lo, 32, v11
	v_cndmask_b32_e32 v1, v1, v11, vcc_lo
	v_dual_lshlrev_b32 v11, 2, v1 :: v_dual_max_num_f32 v1, v2, v7
	ds_bpermute_b32 v2, v11, v1
	s_wait_dscnt 0x0
	v_max_num_f32_e32 v2, v2, v2
	s_delay_alu instid0(VALU_DEP_1) | instskip(NEXT) | instid1(VALU_DEP_1)
	v_max_num_f32_e32 v1, v1, v2
	v_sub_f32_e32 v1, v6, v1
	s_delay_alu instid0(VALU_DEP_1) | instskip(SKIP_1) | instid1(VALU_DEP_2)
	v_mul_f32_e32 v2, 0x3fb8aa3b, v1
	v_cmp_ngt_f32_e32 vcc_lo, 0xc2ce8ed0, v1
	v_fma_f32 v6, 0x3fb8aa3b, v1, -v2
	v_rndne_f32_e32 v7, v2
	s_delay_alu instid0(VALU_DEP_2) | instskip(NEXT) | instid1(VALU_DEP_2)
	v_fmamk_f32 v6, v1, 0x32a5705f, v6
	v_sub_f32_e32 v2, v2, v7
	s_delay_alu instid0(VALU_DEP_1) | instskip(SKIP_1) | instid1(VALU_DEP_2)
	v_add_f32_e32 v2, v2, v6
	v_cvt_i32_f32_e32 v6, v7
	v_exp_f32_e32 v2, v2
	v_nop
	s_delay_alu instid0(TRANS32_DEP_1) | instskip(NEXT) | instid1(VALU_DEP_1)
	v_ldexp_f32 v2, v2, v6
	v_dual_mov_b32 v6, 0 :: v_dual_cndmask_b32 v2, 0, v2, vcc_lo
	v_cmp_nlt_f32_e32 vcc_lo, 0x42b17218, v1
	s_delay_alu instid0(VALU_DEP_2) | instskip(NEXT) | instid1(VALU_DEP_1)
	v_cndmask_b32_e32 v1, 0x7f800000, v2, vcc_lo
	v_cndmask_b32_e64 v2, 0, v1, s1
	ds_bpermute_b32 v3, v3, v2
	s_wait_dscnt 0x0
	v_add_f32_e32 v2, v2, v3
	ds_bpermute_b32 v3, v8, v2
	s_wait_dscnt 0x0
	v_add_f32_e32 v2, v2, v3
	;; [unrolled: 3-line block ×4, first 2 shown]
	ds_bpermute_b32 v3, v11, v2
	s_and_saveexec_b32 s0, s1
	s_cbranch_execz .LBB15_45
; %bb.44:
	s_wait_dscnt 0x0
	v_add_f32_e32 v2, v2, v3
	s_delay_alu instid0(VALU_DEP_1) | instskip(NEXT) | instid1(VALU_DEP_1)
	v_div_scale_f32 v3, null, v2, v2, 1.0
	v_rcp_f32_e32 v6, v3
	v_nop
	s_delay_alu instid0(TRANS32_DEP_1) | instskip(NEXT) | instid1(VALU_DEP_1)
	v_fma_f32 v7, -v3, v6, 1.0
	v_fmac_f32_e32 v6, v7, v6
	v_div_scale_f32 v7, vcc_lo, 1.0, v2, 1.0
	s_delay_alu instid0(VALU_DEP_1) | instskip(NEXT) | instid1(VALU_DEP_1)
	v_mul_f32_e32 v8, v7, v6
	v_fma_f32 v9, -v3, v8, v7
	s_delay_alu instid0(VALU_DEP_1) | instskip(NEXT) | instid1(VALU_DEP_1)
	v_fmac_f32_e32 v8, v9, v6
	v_fma_f32 v3, -v3, v8, v7
	s_delay_alu instid0(VALU_DEP_1) | instskip(NEXT) | instid1(VALU_DEP_1)
	v_div_fmas_f32 v3, v3, v6, v8
	v_div_fixup_f32 v2, v3, v2, 1.0
	s_delay_alu instid0(VALU_DEP_1)
	v_mul_f32_e32 v6, v1, v2
.LBB15_45:
	s_or_b32 exec_lo, exec_lo, s0
	v_cmp_gt_i32_e32 vcc_lo, s5, v5
	s_and_b32 exec_lo, exec_lo, vcc_lo
	s_cbranch_execnz .LBB15_40
	s_branch .LBB15_41
	.section	.rodata,"a",@progbits
	.p2align	6, 0x0
	.amdhsa_kernel _Z13topk_moe_cudaILi16ELb0EEvPKfPfPiS2_iiff15topk_moe_config
		.amdhsa_group_segment_fixed_size 0
		.amdhsa_private_segment_fixed_size 0
		.amdhsa_kernarg_size 312
		.amdhsa_user_sgpr_count 2
		.amdhsa_user_sgpr_dispatch_ptr 0
		.amdhsa_user_sgpr_queue_ptr 0
		.amdhsa_user_sgpr_kernarg_segment_ptr 1
		.amdhsa_user_sgpr_dispatch_id 0
		.amdhsa_user_sgpr_kernarg_preload_length 0
		.amdhsa_user_sgpr_kernarg_preload_offset 0
		.amdhsa_user_sgpr_private_segment_size 0
		.amdhsa_wavefront_size32 1
		.amdhsa_uses_dynamic_stack 0
		.amdhsa_enable_private_segment 0
		.amdhsa_system_sgpr_workgroup_id_x 1
		.amdhsa_system_sgpr_workgroup_id_y 0
		.amdhsa_system_sgpr_workgroup_id_z 0
		.amdhsa_system_sgpr_workgroup_info 0
		.amdhsa_system_vgpr_workitem_id 1
		.amdhsa_next_free_vgpr 19
		.amdhsa_next_free_sgpr 12
		.amdhsa_named_barrier_count 0
		.amdhsa_reserve_vcc 1
		.amdhsa_float_round_mode_32 0
		.amdhsa_float_round_mode_16_64 0
		.amdhsa_float_denorm_mode_32 3
		.amdhsa_float_denorm_mode_16_64 3
		.amdhsa_fp16_overflow 0
		.amdhsa_memory_ordered 1
		.amdhsa_forward_progress 1
		.amdhsa_inst_pref_size 24
		.amdhsa_round_robin_scheduling 0
		.amdhsa_exception_fp_ieee_invalid_op 0
		.amdhsa_exception_fp_denorm_src 0
		.amdhsa_exception_fp_ieee_div_zero 0
		.amdhsa_exception_fp_ieee_overflow 0
		.amdhsa_exception_fp_ieee_underflow 0
		.amdhsa_exception_fp_ieee_inexact 0
		.amdhsa_exception_int_div_zero 0
	.end_amdhsa_kernel
	.section	.text._Z13topk_moe_cudaILi16ELb0EEvPKfPfPiS2_iiff15topk_moe_config,"axG",@progbits,_Z13topk_moe_cudaILi16ELb0EEvPKfPfPiS2_iiff15topk_moe_config,comdat
.Lfunc_end15:
	.size	_Z13topk_moe_cudaILi16ELb0EEvPKfPfPiS2_iiff15topk_moe_config, .Lfunc_end15-_Z13topk_moe_cudaILi16ELb0EEvPKfPfPiS2_iiff15topk_moe_config
                                        ; -- End function
	.set _Z13topk_moe_cudaILi16ELb0EEvPKfPfPiS2_iiff15topk_moe_config.num_vgpr, 19
	.set _Z13topk_moe_cudaILi16ELb0EEvPKfPfPiS2_iiff15topk_moe_config.num_agpr, 0
	.set _Z13topk_moe_cudaILi16ELb0EEvPKfPfPiS2_iiff15topk_moe_config.numbered_sgpr, 12
	.set _Z13topk_moe_cudaILi16ELb0EEvPKfPfPiS2_iiff15topk_moe_config.num_named_barrier, 0
	.set _Z13topk_moe_cudaILi16ELb0EEvPKfPfPiS2_iiff15topk_moe_config.private_seg_size, 0
	.set _Z13topk_moe_cudaILi16ELb0EEvPKfPfPiS2_iiff15topk_moe_config.uses_vcc, 1
	.set _Z13topk_moe_cudaILi16ELb0EEvPKfPfPiS2_iiff15topk_moe_config.uses_flat_scratch, 0
	.set _Z13topk_moe_cudaILi16ELb0EEvPKfPfPiS2_iiff15topk_moe_config.has_dyn_sized_stack, 0
	.set _Z13topk_moe_cudaILi16ELb0EEvPKfPfPiS2_iiff15topk_moe_config.has_recursion, 0
	.set _Z13topk_moe_cudaILi16ELb0EEvPKfPfPiS2_iiff15topk_moe_config.has_indirect_call, 0
	.section	.AMDGPU.csdata,"",@progbits
; Kernel info:
; codeLenInByte = 2956
; TotalNumSgprs: 14
; NumVgprs: 19
; ScratchSize: 0
; MemoryBound: 0
; FloatMode: 240
; IeeeMode: 1
; LDSByteSize: 0 bytes/workgroup (compile time only)
; SGPRBlocks: 0
; VGPRBlocks: 1
; NumSGPRsForWavesPerEU: 14
; NumVGPRsForWavesPerEU: 19
; NamedBarCnt: 0
; Occupancy: 16
; WaveLimiterHint : 0
; COMPUTE_PGM_RSRC2:SCRATCH_EN: 0
; COMPUTE_PGM_RSRC2:USER_SGPR: 2
; COMPUTE_PGM_RSRC2:TRAP_HANDLER: 0
; COMPUTE_PGM_RSRC2:TGID_X_EN: 1
; COMPUTE_PGM_RSRC2:TGID_Y_EN: 0
; COMPUTE_PGM_RSRC2:TGID_Z_EN: 0
; COMPUTE_PGM_RSRC2:TIDIG_COMP_CNT: 1
	.section	.text._Z13topk_moe_cudaILi32ELb0EEvPKfPfPiS2_iiff15topk_moe_config,"axG",@progbits,_Z13topk_moe_cudaILi32ELb0EEvPKfPfPiS2_iiff15topk_moe_config,comdat
	.protected	_Z13topk_moe_cudaILi32ELb0EEvPKfPfPiS2_iiff15topk_moe_config ; -- Begin function _Z13topk_moe_cudaILi32ELb0EEvPKfPfPiS2_iiff15topk_moe_config
	.globl	_Z13topk_moe_cudaILi32ELb0EEvPKfPfPiS2_iiff15topk_moe_config
	.p2align	8
	.type	_Z13topk_moe_cudaILi32ELb0EEvPKfPfPiS2_iiff15topk_moe_config,@function
_Z13topk_moe_cudaILi32ELb0EEvPKfPfPiS2_iiff15topk_moe_config: ; @_Z13topk_moe_cudaILi32ELb0EEvPKfPfPiS2_iiff15topk_moe_config
; %bb.0:
	s_clause 0x1
	s_load_u16 s2, s[0:1], 0x46
	s_load_b128 s[4:7], s[0:1], 0x20
	s_bfe_u32 s3, ttmp6, 0x4000c
	s_and_b32 s8, ttmp6, 15
	s_add_co_i32 s3, s3, 1
	v_bfe_u32 v1, v0, 10, 10
	s_mul_i32 s3, ttmp9, s3
	s_delay_alu instid0(SALU_CYCLE_1) | instskip(SKIP_1) | instid1(SALU_CYCLE_1)
	s_add_co_i32 s8, s8, s3
	s_getreg_b32 s3, hwreg(HW_REG_IB_STS2, 6, 4)
	s_cmp_eq_u32 s3, 0
	s_cselect_b32 s3, ttmp9, s8
	s_wait_kmcnt 0x0
	v_mad_u32 v4, s3, s2, v1
	s_mov_b32 s2, exec_lo
	s_delay_alu instid0(VALU_DEP_1)
	v_cmpx_gt_i32_e64 s4, v4
	s_cbranch_execz .LBB16_39
; %bb.1:
	s_clause 0x1
	s_load_b128 s[8:11], s[0:1], 0x0
	s_load_b64 s[2:3], s[0:1], 0x10
	v_dual_mov_b32 v1, 0 :: v_dual_lshlrev_b32 v2, 5, v4
	v_and_b32_e32 v5, 0x3ff, v0
	s_delay_alu instid0(VALU_DEP_2)
	v_ashrrev_i32_e32 v3, 31, v2
	s_clause 0x1
	global_load_u8 v7, v1, s[0:1] offset:50
	global_load_u16 v6, v1, s[0:1] offset:48
	v_lshlrev_b32_e32 v0, 2, v5
	s_wait_kmcnt 0x0
	v_lshl_add_u64 v[8:9], v[2:3], 2, s[8:9]
	s_delay_alu instid0(VALU_DEP_1)
	v_add_nc_u64_e32 v[8:9], v[8:9], v[0:1]
	global_load_b32 v8, v[8:9], off
	s_wait_loadcnt 0x2
	s_wait_xcnt 0x1
	v_and_b32_e32 v1, 1, v7
	s_wait_loadcnt 0x1
	v_readfirstlane_b32 s1, v6
	s_delay_alu instid0(VALU_DEP_2)
	v_cmp_eq_u32_e64 s0, 1, v1
	s_and_b32 s1, 0xffff, s1
	s_and_b32 vcc_lo, exec_lo, s0
	s_cbranch_vccnz .LBB16_7
; %bb.2:
	v_and_b32_e32 v1, 1, v6
	s_mov_b32 s4, 0
	s_delay_alu instid0(VALU_DEP_1)
	v_cmp_eq_u32_e32 vcc_lo, 0, v1
	s_cbranch_vccz .LBB16_4
; %bb.3:
	v_mbcnt_lo_u32_b32 v1, -1, 0
	s_wait_loadcnt 0x0
	s_delay_alu instid0(VALU_DEP_1) | instskip(SKIP_3) | instid1(VALU_DEP_4)
	v_dual_max_num_f32 v7, v8, v8 :: v_dual_bitop2_b32 v6, 16, v1 bitop3:0x14
	v_xor_b32_e32 v12, 2, v1
	v_xor_b32_e32 v11, 4, v1
	;; [unrolled: 1-line block ×3, first 2 shown]
	v_max_num_f32_e32 v7, 0xff800000, v7
	v_cmp_gt_i32_e32 vcc_lo, 32, v6
	v_dual_cndmask_b32 v6, v1, v6, vcc_lo :: v_dual_bitop2_b32 v10, 8, v1 bitop3:0x14
	s_delay_alu instid0(VALU_DEP_1) | instskip(NEXT) | instid1(VALU_DEP_2)
	v_cmp_gt_i32_e32 vcc_lo, 32, v10
	v_lshlrev_b32_e32 v6, 2, v6
	ds_bpermute_b32 v9, v6, v7
	s_wait_dscnt 0x0
	v_max_num_f32_e32 v9, v9, v9
	v_cndmask_b32_e32 v10, v1, v10, vcc_lo
	v_cmp_gt_i32_e32 vcc_lo, 32, v11
	s_delay_alu instid0(VALU_DEP_2)
	v_dual_max_num_f32 v7, v7, v9 :: v_dual_lshlrev_b32 v10, 2, v10
	ds_bpermute_b32 v9, v10, v7
	s_wait_dscnt 0x0
	v_max_num_f32_e32 v9, v9, v9
	v_cndmask_b32_e32 v11, v1, v11, vcc_lo
	v_cmp_gt_i32_e32 vcc_lo, 32, v12
	s_delay_alu instid0(VALU_DEP_2) | instskip(SKIP_4) | instid1(VALU_DEP_1)
	v_dual_max_num_f32 v7, v7, v9 :: v_dual_lshlrev_b32 v11, 2, v11
	v_cndmask_b32_e32 v12, v1, v12, vcc_lo
	v_cmp_gt_i32_e32 vcc_lo, 32, v13
	ds_bpermute_b32 v9, v11, v7
	v_dual_cndmask_b32 v1, v1, v13 :: v_dual_lshlrev_b32 v12, 2, v12
	v_lshlrev_b32_e32 v1, 2, v1
	s_wait_dscnt 0x0
	v_max_num_f32_e32 v9, v9, v9
	s_delay_alu instid0(VALU_DEP_1) | instskip(SKIP_3) | instid1(VALU_DEP_1)
	v_max_num_f32_e32 v7, v7, v9
	ds_bpermute_b32 v9, v12, v7
	s_wait_dscnt 0x0
	v_max_num_f32_e32 v9, v9, v9
	v_max_num_f32_e32 v7, v7, v9
	ds_bpermute_b32 v9, v1, v7
	s_wait_dscnt 0x0
	v_max_num_f32_e32 v9, v9, v9
	s_delay_alu instid0(VALU_DEP_1) | instskip(NEXT) | instid1(VALU_DEP_1)
	v_max_num_f32_e32 v7, v7, v9
	v_sub_f32_e32 v7, v8, v7
	s_delay_alu instid0(VALU_DEP_1) | instskip(SKIP_1) | instid1(VALU_DEP_2)
	v_mul_f32_e32 v9, 0x3fb8aa3b, v7
	v_cmp_ngt_f32_e32 vcc_lo, 0xc2ce8ed0, v7
	v_fma_f32 v13, 0x3fb8aa3b, v7, -v9
	v_rndne_f32_e32 v14, v9
	s_delay_alu instid0(VALU_DEP_2) | instskip(NEXT) | instid1(VALU_DEP_2)
	v_fmamk_f32 v13, v7, 0x32a5705f, v13
	v_sub_f32_e32 v9, v9, v14
	s_delay_alu instid0(VALU_DEP_1) | instskip(SKIP_1) | instid1(VALU_DEP_2)
	v_add_f32_e32 v9, v9, v13
	v_cvt_i32_f32_e32 v13, v14
	v_exp_f32_e32 v9, v9
	v_nop
	s_delay_alu instid0(TRANS32_DEP_1) | instskip(NEXT) | instid1(VALU_DEP_1)
	v_ldexp_f32 v9, v9, v13
	v_cndmask_b32_e32 v9, 0, v9, vcc_lo
	v_cmp_nlt_f32_e32 vcc_lo, 0x42b17218, v7
	s_delay_alu instid0(VALU_DEP_2)
	v_cndmask_b32_e32 v7, 0x7f800000, v9, vcc_lo
	ds_bpermute_b32 v6, v6, v7
	s_wait_dscnt 0x0
	v_add_f32_e32 v6, v7, v6
	ds_bpermute_b32 v9, v10, v6
	s_wait_dscnt 0x0
	v_add_f32_e32 v6, v6, v9
	;; [unrolled: 3-line block ×5, first 2 shown]
	s_delay_alu instid0(VALU_DEP_1) | instskip(NEXT) | instid1(VALU_DEP_1)
	v_div_scale_f32 v6, null, v1, v1, 1.0
	v_rcp_f32_e32 v9, v6
	v_nop
	s_delay_alu instid0(TRANS32_DEP_1) | instskip(NEXT) | instid1(VALU_DEP_1)
	v_fma_f32 v10, -v6, v9, 1.0
	v_fmac_f32_e32 v9, v10, v9
	v_div_scale_f32 v10, vcc_lo, 1.0, v1, 1.0
	s_delay_alu instid0(VALU_DEP_1) | instskip(NEXT) | instid1(VALU_DEP_1)
	v_mul_f32_e32 v11, v10, v9
	v_fma_f32 v12, -v6, v11, v10
	s_delay_alu instid0(VALU_DEP_1) | instskip(NEXT) | instid1(VALU_DEP_1)
	v_fmac_f32_e32 v11, v12, v9
	v_fma_f32 v6, -v6, v11, v10
	s_delay_alu instid0(VALU_DEP_1) | instskip(NEXT) | instid1(VALU_DEP_1)
	v_div_fmas_f32 v6, v6, v9, v11
	v_div_fixup_f32 v1, v6, v1, 1.0
	s_delay_alu instid0(VALU_DEP_1)
	v_mul_f32_e32 v1, v7, v1
	s_and_not1_b32 vcc_lo, exec_lo, s4
	s_cbranch_vccz .LBB16_5
	s_branch .LBB16_6
.LBB16_4:
                                        ; implicit-def: $vgpr1
.LBB16_5:
	s_wait_loadcnt 0x0
	v_mul_f32_e32 v1, 0xbfb8aa3b, v8
	v_cmp_nlt_f32_e32 vcc_lo, 0x42ce8ed0, v8
	s_delay_alu instid0(VALU_DEP_2) | instskip(SKIP_1) | instid1(VALU_DEP_2)
	v_rndne_f32_e32 v6, v1
	v_fma_f32 v7, 0xbfb8aa3b, v8, -v1
	v_sub_f32_e32 v1, v1, v6
	s_delay_alu instid0(VALU_DEP_2) | instskip(SKIP_1) | instid1(VALU_DEP_2)
	v_fmamk_f32 v7, v8, 0xb2a5705f, v7
	v_cvt_i32_f32_e32 v6, v6
	v_add_f32_e32 v1, v1, v7
	s_delay_alu instid0(VALU_DEP_1) | instskip(SKIP_1) | instid1(TRANS32_DEP_1)
	v_exp_f32_e32 v1, v1
	v_nop
	v_ldexp_f32 v1, v1, v6
	s_delay_alu instid0(VALU_DEP_1) | instskip(SKIP_1) | instid1(VALU_DEP_2)
	v_cndmask_b32_e32 v1, 0, v1, vcc_lo
	v_cmp_ngt_f32_e32 vcc_lo, 0xc2b17218, v8
	v_cndmask_b32_e32 v1, 0x7f800000, v1, vcc_lo
	s_delay_alu instid0(VALU_DEP_1) | instskip(NEXT) | instid1(VALU_DEP_1)
	v_add_f32_e32 v1, 1.0, v1
	v_div_scale_f32 v6, null, v1, v1, 1.0
	s_delay_alu instid0(VALU_DEP_1) | instskip(SKIP_1) | instid1(TRANS32_DEP_1)
	v_rcp_f32_e32 v7, v6
	v_nop
	v_fma_f32 v8, -v6, v7, 1.0
	s_delay_alu instid0(VALU_DEP_1) | instskip(SKIP_1) | instid1(VALU_DEP_1)
	v_fmac_f32_e32 v7, v8, v7
	v_div_scale_f32 v8, vcc_lo, 1.0, v1, 1.0
	v_mul_f32_e32 v9, v8, v7
	s_delay_alu instid0(VALU_DEP_1) | instskip(NEXT) | instid1(VALU_DEP_1)
	v_fma_f32 v10, -v6, v9, v8
	v_fmac_f32_e32 v9, v10, v7
	s_delay_alu instid0(VALU_DEP_1) | instskip(NEXT) | instid1(VALU_DEP_1)
	v_fma_f32 v6, -v6, v9, v8
	v_div_fmas_f32 v6, v6, v7, v9
	s_delay_alu instid0(VALU_DEP_1)
	v_div_fixup_f32 v1, v6, v1, 1.0
.LBB16_6:
	s_wait_loadcnt 0x0
	s_delay_alu instid0(VALU_DEP_1)
	v_mov_b32_e32 v8, v1
.LBB16_7:
	s_lshr_b32 s1, s1, 8
	s_cmp_gt_i32 s5, 0
	s_mov_b32 s8, 0
	s_cbranch_scc1 .LBB16_9
; %bb.8:
	s_bitcmp1_b32 s1, 0
	s_cselect_b32 s4, -1, 0
	s_branch .LBB16_10
.LBB16_9:
	s_mov_b32 s8, -1
                                        ; implicit-def: $sgpr4
.LBB16_10:
	v_dual_mov_b32 v7, 0 :: v_dual_mov_b32 v6, 0
	v_mbcnt_lo_u32_b32 v1, -1, 0
	s_and_not1_b32 vcc_lo, exec_lo, s8
	s_cbranch_vccnz .LBB16_35
; %bb.11:
	s_wait_loadcnt 0x0
	v_cmp_o_f32_e32 vcc_lo, v8, v8
	v_xor_b32_e32 v7, 8, v1
	v_xor_b32_e32 v6, 16, v1
	v_lshl_add_u64 v[2:3], v[2:3], 2, s[2:3]
	s_bitcmp1_b32 s1, 0
	v_cndmask_b32_e32 v8, 0xff7fffff, v8, vcc_lo
	s_mov_b32 s2, 0
	v_cmp_gt_i32_e32 vcc_lo, 32, v6
	s_cselect_b32 s4, -1, 0
	v_cndmask_b32_e32 v6, v1, v6, vcc_lo
	v_cmp_gt_i32_e32 vcc_lo, 32, v7
	v_dual_cndmask_b32 v7, v1, v7, vcc_lo :: v_dual_bitop2_b32 v11, 1, v1 bitop3:0x14
	v_xor_b32_e32 v10, 2, v1
	v_xor_b32_e32 v9, 4, v1
	s_delay_alu instid0(VALU_DEP_1) | instskip(SKIP_1) | instid1(VALU_DEP_4)
	v_cmp_gt_i32_e32 vcc_lo, 32, v9
	v_cndmask_b32_e32 v12, v1, v9, vcc_lo
	v_cmp_gt_i32_e32 vcc_lo, 32, v10
	v_dual_mov_b32 v6, 0 :: v_dual_lshlrev_b32 v9, 2, v6
	v_dual_cndmask_b32 v13, v1, v10 :: v_dual_lshlrev_b32 v10, 2, v7
	v_cmp_gt_i32_e32 vcc_lo, 32, v11
	v_dual_mov_b32 v7, 0 :: v_dual_cndmask_b32 v14, v1, v11
	s_delay_alu instid0(VALU_DEP_3) | instskip(NEXT) | instid1(VALU_DEP_2)
	v_dual_lshlrev_b32 v11, 2, v12 :: v_dual_lshlrev_b32 v12, 2, v13
	v_lshlrev_b32_e32 v13, 2, v14
	s_branch .LBB16_13
.LBB16_12:                              ;   in Loop: Header=BB16_13 Depth=1
	s_wait_xcnt 0x0
	s_or_b32 exec_lo, exec_lo, s1
	s_and_b32 s1, s2, 31
	v_cndmask_b32_e64 v8, v8, 0xff800000, vcc_lo
	v_cmp_eq_u32_e32 vcc_lo, s1, v5
	v_add_nc_u64_e32 v[2:3], 4, v[2:3]
	s_add_co_i32 s2, s2, 1
	s_delay_alu instid0(SALU_CYCLE_1)
	s_cmp_eq_u32 s5, s2
	v_cndmask_b32_e32 v6, v6, v14, vcc_lo
	s_cbranch_scc1 .LBB16_35
.LBB16_13:                              ; =>This Inner Loop Header: Depth=1
	s_wait_dscnt 0x0
	ds_bpermute_b32 v17, v9, v8
	ds_bpermute_b32 v18, v9, v5
	s_mov_b32 s8, exec_lo
	s_wait_dscnt 0x1
	v_cmp_lt_f32_e64 s3, v8, v17
	v_cmpx_nlt_f32_e32 v8, v17
	s_cbranch_execz .LBB16_15
; %bb.14:                               ;   in Loop: Header=BB16_13 Depth=1
	v_cmp_eq_f32_e32 vcc_lo, v8, v17
	s_wait_dscnt 0x0
	v_cmp_lt_i32_e64 s1, v18, v5
	s_and_not1_b32 s3, s3, exec_lo
	s_and_b32 s1, vcc_lo, s1
	s_delay_alu instid0(SALU_CYCLE_1) | instskip(NEXT) | instid1(SALU_CYCLE_1)
	s_and_b32 s1, s1, exec_lo
	s_or_b32 s3, s3, s1
.LBB16_15:                              ;   in Loop: Header=BB16_13 Depth=1
	s_or_b32 exec_lo, exec_lo, s8
	v_dual_mov_b32 v16, v8 :: v_dual_mov_b32 v14, v8
	v_mov_b32_e32 v15, v5
	s_and_saveexec_b32 s1, s3
	s_cbranch_execz .LBB16_17
; %bb.16:                               ;   in Loop: Header=BB16_13 Depth=1
	v_dual_mov_b32 v16, v17 :: v_dual_mov_b32 v14, v17
	s_wait_dscnt 0x0
	v_mov_b32_e32 v15, v18
.LBB16_17:                              ;   in Loop: Header=BB16_13 Depth=1
	s_or_b32 exec_lo, exec_lo, s1
	ds_bpermute_b32 v17, v10, v16
	s_wait_dscnt 0x1
	ds_bpermute_b32 v18, v10, v15
	s_mov_b32 s8, exec_lo
	s_wait_dscnt 0x1
	v_cmp_lt_f32_e64 s3, v14, v17
	v_cmpx_nlt_f32_e32 v14, v17
	s_cbranch_execz .LBB16_19
; %bb.18:                               ;   in Loop: Header=BB16_13 Depth=1
	v_cmp_eq_f32_e32 vcc_lo, v14, v17
	s_wait_dscnt 0x0
	v_cmp_lt_i32_e64 s1, v18, v15
	s_and_not1_b32 s3, s3, exec_lo
	s_and_b32 s1, vcc_lo, s1
	s_delay_alu instid0(SALU_CYCLE_1) | instskip(NEXT) | instid1(SALU_CYCLE_1)
	s_and_b32 s1, s1, exec_lo
	s_or_b32 s3, s3, s1
.LBB16_19:                              ;   in Loop: Header=BB16_13 Depth=1
	s_or_b32 exec_lo, exec_lo, s8
	s_and_saveexec_b32 s1, s3
	s_cbranch_execz .LBB16_21
; %bb.20:                               ;   in Loop: Header=BB16_13 Depth=1
	v_dual_mov_b32 v16, v17 :: v_dual_mov_b32 v14, v17
	s_wait_dscnt 0x0
	v_mov_b32_e32 v15, v18
.LBB16_21:                              ;   in Loop: Header=BB16_13 Depth=1
	s_or_b32 exec_lo, exec_lo, s1
	ds_bpermute_b32 v17, v11, v16
	s_wait_dscnt 0x1
	ds_bpermute_b32 v18, v11, v15
	s_mov_b32 s8, exec_lo
	s_wait_dscnt 0x1
	v_cmp_lt_f32_e64 s3, v14, v17
	v_cmpx_nlt_f32_e32 v14, v17
	s_cbranch_execz .LBB16_23
; %bb.22:                               ;   in Loop: Header=BB16_13 Depth=1
	v_cmp_eq_f32_e32 vcc_lo, v14, v17
	s_wait_dscnt 0x0
	v_cmp_lt_i32_e64 s1, v18, v15
	s_and_not1_b32 s3, s3, exec_lo
	s_and_b32 s1, vcc_lo, s1
	s_delay_alu instid0(SALU_CYCLE_1) | instskip(NEXT) | instid1(SALU_CYCLE_1)
	s_and_b32 s1, s1, exec_lo
	s_or_b32 s3, s3, s1
.LBB16_23:                              ;   in Loop: Header=BB16_13 Depth=1
	s_or_b32 exec_lo, exec_lo, s8
	s_and_saveexec_b32 s1, s3
	s_cbranch_execz .LBB16_25
; %bb.24:                               ;   in Loop: Header=BB16_13 Depth=1
	v_dual_mov_b32 v16, v17 :: v_dual_mov_b32 v14, v17
	s_wait_dscnt 0x0
	v_mov_b32_e32 v15, v18
.LBB16_25:                              ;   in Loop: Header=BB16_13 Depth=1
	s_or_b32 exec_lo, exec_lo, s1
	ds_bpermute_b32 v17, v12, v16
	s_wait_dscnt 0x1
	ds_bpermute_b32 v18, v12, v15
	s_mov_b32 s8, exec_lo
	s_wait_dscnt 0x1
	v_cmp_lt_f32_e64 s3, v14, v17
	v_cmpx_nlt_f32_e32 v14, v17
	s_cbranch_execz .LBB16_27
; %bb.26:                               ;   in Loop: Header=BB16_13 Depth=1
	v_cmp_eq_f32_e32 vcc_lo, v14, v17
	s_wait_dscnt 0x0
	v_cmp_lt_i32_e64 s1, v18, v15
	s_and_not1_b32 s3, s3, exec_lo
	s_and_b32 s1, vcc_lo, s1
	s_delay_alu instid0(SALU_CYCLE_1) | instskip(NEXT) | instid1(SALU_CYCLE_1)
	s_and_b32 s1, s1, exec_lo
	s_or_b32 s3, s3, s1
.LBB16_27:                              ;   in Loop: Header=BB16_13 Depth=1
	s_or_b32 exec_lo, exec_lo, s8
	s_and_saveexec_b32 s1, s3
	s_cbranch_execz .LBB16_29
; %bb.28:                               ;   in Loop: Header=BB16_13 Depth=1
	v_dual_mov_b32 v16, v17 :: v_dual_mov_b32 v14, v17
	s_wait_dscnt 0x0
	v_mov_b32_e32 v15, v18
.LBB16_29:                              ;   in Loop: Header=BB16_13 Depth=1
	s_or_b32 exec_lo, exec_lo, s1
	ds_bpermute_b32 v16, v13, v16
	ds_bpermute_b32 v17, v13, v15
	s_mov_b32 s8, exec_lo
	s_wait_dscnt 0x1
	v_cmp_lt_f32_e64 s3, v14, v16
	v_cmpx_nlt_f32_e32 v14, v16
	s_cbranch_execz .LBB16_31
; %bb.30:                               ;   in Loop: Header=BB16_13 Depth=1
	v_cmp_eq_f32_e32 vcc_lo, v14, v16
	s_wait_dscnt 0x0
	v_cmp_lt_i32_e64 s1, v17, v15
	s_and_not1_b32 s3, s3, exec_lo
	s_and_b32 s1, vcc_lo, s1
	s_delay_alu instid0(SALU_CYCLE_1) | instskip(NEXT) | instid1(SALU_CYCLE_1)
	s_and_b32 s1, s1, exec_lo
	s_or_b32 s3, s3, s1
.LBB16_31:                              ;   in Loop: Header=BB16_13 Depth=1
	s_or_b32 exec_lo, exec_lo, s8
	s_and_saveexec_b32 s1, s3
	s_cbranch_execz .LBB16_33
; %bb.32:                               ;   in Loop: Header=BB16_13 Depth=1
	s_wait_dscnt 0x0
	v_dual_mov_b32 v14, v16 :: v_dual_mov_b32 v15, v17
.LBB16_33:                              ;   in Loop: Header=BB16_13 Depth=1
	s_or_b32 exec_lo, exec_lo, s1
	s_delay_alu instid0(VALU_DEP_1) | instskip(NEXT) | instid1(VALU_DEP_1)
	v_and_b32_e32 v16, 31, v15
	v_cmp_eq_u32_e32 vcc_lo, v16, v5
	s_and_saveexec_b32 s1, vcc_lo
	s_cbranch_execz .LBB16_12
; %bb.34:                               ;   in Loop: Header=BB16_13 Depth=1
	v_add_f32_e32 v16, v7, v14
	global_store_b32 v[2:3], v15, off
	v_cndmask_b32_e64 v7, v7, v16, s4
	s_branch .LBB16_12
.LBB16_35:
	s_and_b32 vcc_lo, exec_lo, s4
	s_cbranch_vccnz .LBB16_40
; %bb.36:
	v_cmp_gt_i32_e64 s1, s5, v5
	s_and_not1_b32 vcc_lo, exec_lo, s0
	s_cbranch_vccz .LBB16_41
.LBB16_37:
	v_cmp_gt_i32_e32 vcc_lo, s5, v5
	s_wait_xcnt 0x0
	s_and_b32 exec_lo, exec_lo, vcc_lo
	s_cbranch_execz .LBB16_39
.LBB16_38:
	v_mul_lo_u32 v2, v4, s5
	s_wait_dscnt 0x0
	s_delay_alu instid0(VALU_DEP_1) | instskip(NEXT) | instid1(VALU_DEP_1)
	v_dual_mov_b32 v1, 0 :: v_dual_ashrrev_i32 v3, 31, v2
	v_lshl_add_u64 v[2:3], v[2:3], 2, s[10:11]
	s_delay_alu instid0(VALU_DEP_1)
	v_add_nc_u64_e32 v[0:1], v[2:3], v[0:1]
	v_mul_f32_e32 v2, s7, v6
	global_store_b32 v[0:1], v2, off
.LBB16_39:
	s_endpgm
.LBB16_40:
	v_xor_b32_e32 v3, 8, v1
	v_xor_b32_e32 v2, 16, v1
	s_delay_alu instid0(VALU_DEP_1) | instskip(SKIP_1) | instid1(VALU_DEP_4)
	v_cmp_gt_i32_e32 vcc_lo, 32, v2
	v_cndmask_b32_e32 v2, v1, v2, vcc_lo
	v_cmp_gt_i32_e32 vcc_lo, 32, v3
	v_cndmask_b32_e32 v3, v1, v3, vcc_lo
	s_delay_alu instid0(VALU_DEP_1)
	v_dual_lshlrev_b32 v3, 2, v3 :: v_dual_lshlrev_b32 v2, 2, v2
	ds_bpermute_b32 v2, v2, v7
	s_wait_dscnt 0x0
	v_dual_add_f32 v2, v7, v2 :: v_dual_bitop2_b32 v7, 4, v1 bitop3:0x14
	ds_bpermute_b32 v3, v3, v2
	v_cmp_gt_i32_e32 vcc_lo, 32, v7
	v_cndmask_b32_e32 v7, v1, v7, vcc_lo
	s_delay_alu instid0(VALU_DEP_1) | instskip(SKIP_4) | instid1(VALU_DEP_1)
	v_lshlrev_b32_e32 v7, 2, v7
	s_wait_dscnt 0x0
	v_add_f32_e32 v2, v2, v3
	ds_bpermute_b32 v3, v7, v2
	v_xor_b32_e32 v7, 2, v1
	v_cmp_gt_i32_e32 vcc_lo, 32, v7
	v_cndmask_b32_e32 v7, v1, v7, vcc_lo
	s_delay_alu instid0(VALU_DEP_1) | instskip(SKIP_4) | instid1(VALU_DEP_1)
	v_lshlrev_b32_e32 v7, 2, v7
	s_wait_dscnt 0x0
	v_add_f32_e32 v2, v2, v3
	ds_bpermute_b32 v3, v7, v2
	v_xor_b32_e32 v7, 1, v1
	v_cmp_gt_i32_e32 vcc_lo, 32, v7
	v_cndmask_b32_e32 v7, v1, v7, vcc_lo
	s_delay_alu instid0(VALU_DEP_1)
	v_lshlrev_b32_e32 v7, 2, v7
	s_wait_dscnt 0x0
	v_add_f32_e32 v2, v2, v3
	ds_bpermute_b32 v3, v7, v2
	v_max_num_f32_e64 v7, s6, s6
	s_wait_dscnt 0x0
	v_add_f32_e32 v2, v2, v3
	s_delay_alu instid0(VALU_DEP_1) | instskip(NEXT) | instid1(VALU_DEP_1)
	v_max_num_f32_e32 v2, v2, v7
	v_div_scale_f32 v3, null, v2, v2, 1.0
	s_delay_alu instid0(VALU_DEP_1) | instskip(SKIP_2) | instid1(TRANS32_DEP_1)
	v_rcp_f32_e32 v7, v3
	s_wait_loadcnt 0x0
	v_nop
	v_fma_f32 v8, -v3, v7, 1.0
	s_delay_alu instid0(VALU_DEP_1) | instskip(SKIP_1) | instid1(VALU_DEP_1)
	v_fmac_f32_e32 v7, v8, v7
	v_div_scale_f32 v8, vcc_lo, 1.0, v2, 1.0
	v_mul_f32_e32 v9, v8, v7
	s_delay_alu instid0(VALU_DEP_1) | instskip(NEXT) | instid1(VALU_DEP_1)
	v_fma_f32 v10, -v3, v9, v8
	v_fmac_f32_e32 v9, v10, v7
	s_delay_alu instid0(VALU_DEP_1) | instskip(NEXT) | instid1(VALU_DEP_1)
	v_fma_f32 v3, -v3, v9, v8
	v_div_fmas_f32 v3, v3, v7, v9
	s_delay_alu instid0(VALU_DEP_1) | instskip(NEXT) | instid1(VALU_DEP_1)
	v_div_fixup_f32 v2, v3, v2, 1.0
	v_mul_f32_e32 v6, v2, v6
	v_cmp_gt_i32_e64 s1, s5, v5
	s_and_not1_b32 vcc_lo, exec_lo, s0
	s_cbranch_vccnz .LBB16_37
.LBB16_41:
	v_dual_max_num_f32 v2, v6, v6 :: v_dual_bitop2_b32 v3, 16, v1 bitop3:0x14
	v_xor_b32_e32 v10, 2, v1
	s_wait_loadcnt 0x0
	v_xor_b32_e32 v8, 8, v1
	s_delay_alu instid0(VALU_DEP_3) | instskip(SKIP_1) | instid1(VALU_DEP_1)
	v_cmp_gt_i32_e32 vcc_lo, 32, v3
	v_dual_max_num_f32 v2, 0xff800000, v2 :: v_dual_cndmask_b32 v3, v1, v3
	v_cndmask_b32_e64 v2, 0xff800000, v2, s1
	s_delay_alu instid0(VALU_DEP_4) | instskip(NEXT) | instid1(VALU_DEP_3)
	v_cmp_gt_i32_e32 vcc_lo, 32, v8
	v_lshlrev_b32_e32 v3, 2, v3
	ds_bpermute_b32 v7, v3, v2
	s_wait_dscnt 0x0
	v_dual_cndmask_b32 v8, v1, v8 :: v_dual_max_num_f32 v7, v7, v7
	s_delay_alu instid0(VALU_DEP_1) | instskip(SKIP_3) | instid1(VALU_DEP_1)
	v_dual_lshlrev_b32 v8, 2, v8 :: v_dual_max_num_f32 v2, v2, v7
	ds_bpermute_b32 v7, v8, v2
	s_wait_dscnt 0x0
	v_dual_max_num_f32 v7, v7, v7 :: v_dual_bitop2_b32 v9, 4, v1 bitop3:0x14
	v_cmp_gt_i32_e32 vcc_lo, 32, v9
	s_delay_alu instid0(VALU_DEP_2) | instskip(SKIP_1) | instid1(VALU_DEP_2)
	v_dual_max_num_f32 v2, v2, v7 :: v_dual_cndmask_b32 v9, v1, v9
	v_cmp_gt_i32_e32 vcc_lo, 32, v10
	v_dual_cndmask_b32 v10, v1, v10 :: v_dual_lshlrev_b32 v9, 2, v9
	ds_bpermute_b32 v7, v9, v2
	s_wait_dscnt 0x0
	v_dual_max_num_f32 v7, v7, v7 :: v_dual_lshlrev_b32 v10, 2, v10
	s_delay_alu instid0(VALU_DEP_1) | instskip(SKIP_3) | instid1(VALU_DEP_1)
	v_max_num_f32_e32 v2, v2, v7
	ds_bpermute_b32 v7, v10, v2
	s_wait_dscnt 0x0
	v_dual_max_num_f32 v7, v7, v7 :: v_dual_bitop2_b32 v11, 1, v1 bitop3:0x14
	v_cmp_gt_i32_e32 vcc_lo, 32, v11
	v_cndmask_b32_e32 v1, v1, v11, vcc_lo
	s_delay_alu instid0(VALU_DEP_1) | instskip(SKIP_3) | instid1(VALU_DEP_1)
	v_dual_lshlrev_b32 v11, 2, v1 :: v_dual_max_num_f32 v1, v2, v7
	ds_bpermute_b32 v2, v11, v1
	s_wait_dscnt 0x0
	v_max_num_f32_e32 v2, v2, v2
	v_max_num_f32_e32 v1, v1, v2
	s_delay_alu instid0(VALU_DEP_1) | instskip(NEXT) | instid1(VALU_DEP_1)
	v_sub_f32_e32 v1, v6, v1
	v_mul_f32_e32 v2, 0x3fb8aa3b, v1
	v_cmp_ngt_f32_e32 vcc_lo, 0xc2ce8ed0, v1
	s_delay_alu instid0(VALU_DEP_2) | instskip(SKIP_1) | instid1(VALU_DEP_2)
	v_fma_f32 v6, 0x3fb8aa3b, v1, -v2
	v_rndne_f32_e32 v7, v2
	v_fmamk_f32 v6, v1, 0x32a5705f, v6
	s_delay_alu instid0(VALU_DEP_2) | instskip(NEXT) | instid1(VALU_DEP_1)
	v_sub_f32_e32 v2, v2, v7
	v_add_f32_e32 v2, v2, v6
	v_cvt_i32_f32_e32 v6, v7
	s_delay_alu instid0(VALU_DEP_2) | instskip(SKIP_1) | instid1(TRANS32_DEP_1)
	v_exp_f32_e32 v2, v2
	v_nop
	v_ldexp_f32 v2, v2, v6
	s_delay_alu instid0(VALU_DEP_1) | instskip(SKIP_1) | instid1(VALU_DEP_2)
	v_dual_mov_b32 v6, 0 :: v_dual_cndmask_b32 v2, 0, v2, vcc_lo
	v_cmp_nlt_f32_e32 vcc_lo, 0x42b17218, v1
	v_cndmask_b32_e32 v1, 0x7f800000, v2, vcc_lo
	s_delay_alu instid0(VALU_DEP_1)
	v_cndmask_b32_e64 v2, 0, v1, s1
	ds_bpermute_b32 v3, v3, v2
	s_wait_dscnt 0x0
	v_add_f32_e32 v2, v2, v3
	ds_bpermute_b32 v3, v8, v2
	s_wait_dscnt 0x0
	v_add_f32_e32 v2, v2, v3
	ds_bpermute_b32 v3, v9, v2
	s_wait_dscnt 0x0
	v_add_f32_e32 v2, v2, v3
	ds_bpermute_b32 v3, v10, v2
	s_wait_dscnt 0x0
	v_add_f32_e32 v2, v2, v3
	ds_bpermute_b32 v3, v11, v2
	s_and_saveexec_b32 s0, s1
	s_cbranch_execz .LBB16_43
; %bb.42:
	s_wait_dscnt 0x0
	v_add_f32_e32 v2, v2, v3
	s_delay_alu instid0(VALU_DEP_1) | instskip(NEXT) | instid1(VALU_DEP_1)
	v_div_scale_f32 v3, null, v2, v2, 1.0
	v_rcp_f32_e32 v6, v3
	v_nop
	s_delay_alu instid0(TRANS32_DEP_1) | instskip(NEXT) | instid1(VALU_DEP_1)
	v_fma_f32 v7, -v3, v6, 1.0
	v_fmac_f32_e32 v6, v7, v6
	v_div_scale_f32 v7, vcc_lo, 1.0, v2, 1.0
	s_delay_alu instid0(VALU_DEP_1) | instskip(NEXT) | instid1(VALU_DEP_1)
	v_mul_f32_e32 v8, v7, v6
	v_fma_f32 v9, -v3, v8, v7
	s_delay_alu instid0(VALU_DEP_1) | instskip(NEXT) | instid1(VALU_DEP_1)
	v_fmac_f32_e32 v8, v9, v6
	v_fma_f32 v3, -v3, v8, v7
	s_delay_alu instid0(VALU_DEP_1) | instskip(NEXT) | instid1(VALU_DEP_1)
	v_div_fmas_f32 v3, v3, v6, v8
	v_div_fixup_f32 v2, v3, v2, 1.0
	s_delay_alu instid0(VALU_DEP_1)
	v_mul_f32_e32 v6, v1, v2
.LBB16_43:
	s_or_b32 exec_lo, exec_lo, s0
	v_cmp_gt_i32_e32 vcc_lo, s5, v5
	s_and_b32 exec_lo, exec_lo, vcc_lo
	s_cbranch_execnz .LBB16_38
	s_branch .LBB16_39
	.section	.rodata,"a",@progbits
	.p2align	6, 0x0
	.amdhsa_kernel _Z13topk_moe_cudaILi32ELb0EEvPKfPfPiS2_iiff15topk_moe_config
		.amdhsa_group_segment_fixed_size 0
		.amdhsa_private_segment_fixed_size 0
		.amdhsa_kernarg_size 312
		.amdhsa_user_sgpr_count 2
		.amdhsa_user_sgpr_dispatch_ptr 0
		.amdhsa_user_sgpr_queue_ptr 0
		.amdhsa_user_sgpr_kernarg_segment_ptr 1
		.amdhsa_user_sgpr_dispatch_id 0
		.amdhsa_user_sgpr_kernarg_preload_length 0
		.amdhsa_user_sgpr_kernarg_preload_offset 0
		.amdhsa_user_sgpr_private_segment_size 0
		.amdhsa_wavefront_size32 1
		.amdhsa_uses_dynamic_stack 0
		.amdhsa_enable_private_segment 0
		.amdhsa_system_sgpr_workgroup_id_x 1
		.amdhsa_system_sgpr_workgroup_id_y 0
		.amdhsa_system_sgpr_workgroup_id_z 0
		.amdhsa_system_sgpr_workgroup_info 0
		.amdhsa_system_vgpr_workitem_id 1
		.amdhsa_next_free_vgpr 19
		.amdhsa_next_free_sgpr 12
		.amdhsa_named_barrier_count 0
		.amdhsa_reserve_vcc 1
		.amdhsa_float_round_mode_32 0
		.amdhsa_float_round_mode_16_64 0
		.amdhsa_float_denorm_mode_32 3
		.amdhsa_float_denorm_mode_16_64 3
		.amdhsa_fp16_overflow 0
		.amdhsa_memory_ordered 1
		.amdhsa_forward_progress 1
		.amdhsa_inst_pref_size 24
		.amdhsa_round_robin_scheduling 0
		.amdhsa_exception_fp_ieee_invalid_op 0
		.amdhsa_exception_fp_denorm_src 0
		.amdhsa_exception_fp_ieee_div_zero 0
		.amdhsa_exception_fp_ieee_overflow 0
		.amdhsa_exception_fp_ieee_underflow 0
		.amdhsa_exception_fp_ieee_inexact 0
		.amdhsa_exception_int_div_zero 0
	.end_amdhsa_kernel
	.section	.text._Z13topk_moe_cudaILi32ELb0EEvPKfPfPiS2_iiff15topk_moe_config,"axG",@progbits,_Z13topk_moe_cudaILi32ELb0EEvPKfPfPiS2_iiff15topk_moe_config,comdat
.Lfunc_end16:
	.size	_Z13topk_moe_cudaILi32ELb0EEvPKfPfPiS2_iiff15topk_moe_config, .Lfunc_end16-_Z13topk_moe_cudaILi32ELb0EEvPKfPfPiS2_iiff15topk_moe_config
                                        ; -- End function
	.set _Z13topk_moe_cudaILi32ELb0EEvPKfPfPiS2_iiff15topk_moe_config.num_vgpr, 19
	.set _Z13topk_moe_cudaILi32ELb0EEvPKfPfPiS2_iiff15topk_moe_config.num_agpr, 0
	.set _Z13topk_moe_cudaILi32ELb0EEvPKfPfPiS2_iiff15topk_moe_config.numbered_sgpr, 12
	.set _Z13topk_moe_cudaILi32ELb0EEvPKfPfPiS2_iiff15topk_moe_config.num_named_barrier, 0
	.set _Z13topk_moe_cudaILi32ELb0EEvPKfPfPiS2_iiff15topk_moe_config.private_seg_size, 0
	.set _Z13topk_moe_cudaILi32ELb0EEvPKfPfPiS2_iiff15topk_moe_config.uses_vcc, 1
	.set _Z13topk_moe_cudaILi32ELb0EEvPKfPfPiS2_iiff15topk_moe_config.uses_flat_scratch, 0
	.set _Z13topk_moe_cudaILi32ELb0EEvPKfPfPiS2_iiff15topk_moe_config.has_dyn_sized_stack, 0
	.set _Z13topk_moe_cudaILi32ELb0EEvPKfPfPiS2_iiff15topk_moe_config.has_recursion, 0
	.set _Z13topk_moe_cudaILi32ELb0EEvPKfPfPiS2_iiff15topk_moe_config.has_indirect_call, 0
	.section	.AMDGPU.csdata,"",@progbits
; Kernel info:
; codeLenInByte = 2956
; TotalNumSgprs: 14
; NumVgprs: 19
; ScratchSize: 0
; MemoryBound: 0
; FloatMode: 240
; IeeeMode: 1
; LDSByteSize: 0 bytes/workgroup (compile time only)
; SGPRBlocks: 0
; VGPRBlocks: 1
; NumSGPRsForWavesPerEU: 14
; NumVGPRsForWavesPerEU: 19
; NamedBarCnt: 0
; Occupancy: 16
; WaveLimiterHint : 0
; COMPUTE_PGM_RSRC2:SCRATCH_EN: 0
; COMPUTE_PGM_RSRC2:USER_SGPR: 2
; COMPUTE_PGM_RSRC2:TRAP_HANDLER: 0
; COMPUTE_PGM_RSRC2:TGID_X_EN: 1
; COMPUTE_PGM_RSRC2:TGID_Y_EN: 0
; COMPUTE_PGM_RSRC2:TGID_Z_EN: 0
; COMPUTE_PGM_RSRC2:TIDIG_COMP_CNT: 1
	.section	.text._Z13topk_moe_cudaILi64ELb0EEvPKfPfPiS2_iiff15topk_moe_config,"axG",@progbits,_Z13topk_moe_cudaILi64ELb0EEvPKfPfPiS2_iiff15topk_moe_config,comdat
	.protected	_Z13topk_moe_cudaILi64ELb0EEvPKfPfPiS2_iiff15topk_moe_config ; -- Begin function _Z13topk_moe_cudaILi64ELb0EEvPKfPfPiS2_iiff15topk_moe_config
	.globl	_Z13topk_moe_cudaILi64ELb0EEvPKfPfPiS2_iiff15topk_moe_config
	.p2align	8
	.type	_Z13topk_moe_cudaILi64ELb0EEvPKfPfPiS2_iiff15topk_moe_config,@function
_Z13topk_moe_cudaILi64ELb0EEvPKfPfPiS2_iiff15topk_moe_config: ; @_Z13topk_moe_cudaILi64ELb0EEvPKfPfPiS2_iiff15topk_moe_config
; %bb.0:
	s_clause 0x1
	s_load_u16 s2, s[0:1], 0x46
	s_load_b128 s[4:7], s[0:1], 0x20
	s_bfe_u32 s3, ttmp6, 0x4000c
	s_and_b32 s8, ttmp6, 15
	s_add_co_i32 s3, s3, 1
	v_bfe_u32 v1, v0, 10, 10
	s_mul_i32 s3, ttmp9, s3
	s_delay_alu instid0(SALU_CYCLE_1) | instskip(SKIP_1) | instid1(SALU_CYCLE_1)
	s_add_co_i32 s8, s8, s3
	s_getreg_b32 s3, hwreg(HW_REG_IB_STS2, 6, 4)
	s_cmp_eq_u32 s3, 0
	s_cselect_b32 s3, ttmp9, s8
	s_wait_kmcnt 0x0
	v_mad_u32 v3, s3, s2, v1
	s_mov_b32 s2, exec_lo
	s_delay_alu instid0(VALU_DEP_1)
	v_cmpx_gt_i32_e64 s4, v3
	s_cbranch_execz .LBB17_18
; %bb.1:
	s_clause 0x1
	s_load_b128 s[8:11], s[0:1], 0x0
	s_load_b64 s[2:3], s[0:1], 0x10
	v_dual_mov_b32 v1, 0 :: v_dual_lshlrev_b32 v4, 6, v3
	v_and_b32_e32 v2, 0x3ff, v0
	s_delay_alu instid0(VALU_DEP_2)
	v_ashrrev_i32_e32 v5, 31, v4
	s_clause 0x1
	global_load_u8 v7, v1, s[0:1] offset:50
	global_load_u16 v6, v1, s[0:1] offset:48
	v_lshlrev_b32_e32 v0, 2, v2
	s_wait_kmcnt 0x0
	v_lshl_add_u64 v[8:9], v[4:5], 2, s[8:9]
	s_delay_alu instid0(VALU_DEP_1)
	v_add_nc_u64_e32 v[10:11], v[8:9], v[0:1]
	s_clause 0x1
	global_load_b32 v8, v[10:11], off
	global_load_b32 v1, v[10:11], off offset:128
	s_wait_loadcnt 0x3
	v_and_b32_e32 v7, 1, v7
	s_wait_loadcnt 0x2
	v_readfirstlane_b32 s1, v6
	s_delay_alu instid0(VALU_DEP_2)
	v_cmp_eq_u32_e64 s0, 1, v7
	s_and_b32 s4, 0xffff, s1
	s_and_b32 vcc_lo, exec_lo, s0
	s_cbranch_vccnz .LBB17_7
; %bb.2:
	v_and_b32_e32 v6, 1, v6
	s_mov_b32 s1, 0
	s_delay_alu instid0(VALU_DEP_1)
	v_cmp_eq_u32_e32 vcc_lo, 0, v6
	s_cbranch_vccz .LBB17_4
; %bb.3:
	v_mbcnt_lo_u32_b32 v6, -1, 0
	s_wait_loadcnt 0x0
	v_max3_num_f32 v9, v8, 0xff800000, v1
	s_delay_alu instid0(VALU_DEP_2) | instskip(SKIP_4) | instid1(VALU_DEP_4)
	v_xor_b32_e32 v11, 8, v6
	v_xor_b32_e32 v7, 16, v6
	;; [unrolled: 1-line block ×5, first 2 shown]
	v_cmp_gt_i32_e32 vcc_lo, 32, v7
	v_cndmask_b32_e32 v7, v6, v7, vcc_lo
	s_delay_alu instid0(VALU_DEP_1) | instskip(SKIP_3) | instid1(VALU_DEP_1)
	v_lshlrev_b32_e32 v10, 2, v7
	ds_bpermute_b32 v7, v10, v9
	s_wait_dscnt 0x0
	v_max_num_f32_e32 v7, v7, v7
	v_max_num_f32_e32 v7, v9, v7
	v_cmp_gt_i32_e32 vcc_lo, 32, v11
	v_cndmask_b32_e32 v11, v6, v11, vcc_lo
	v_cmp_gt_i32_e32 vcc_lo, 32, v12
	s_delay_alu instid0(VALU_DEP_2) | instskip(SKIP_4) | instid1(VALU_DEP_2)
	v_dual_cndmask_b32 v12, v6, v12 :: v_dual_lshlrev_b32 v11, 2, v11
	v_cmp_gt_i32_e32 vcc_lo, 32, v13
	ds_bpermute_b32 v9, v11, v7
	v_dual_cndmask_b32 v13, v6, v13 :: v_dual_lshlrev_b32 v12, 2, v12
	v_cmp_gt_i32_e32 vcc_lo, 32, v14
	v_dual_cndmask_b32 v6, v6, v14 :: v_dual_lshlrev_b32 v13, 2, v13
	s_wait_dscnt 0x0
	s_delay_alu instid0(VALU_DEP_1) | instskip(NEXT) | instid1(VALU_DEP_1)
	v_dual_max_num_f32 v9, v9, v9 :: v_dual_lshlrev_b32 v14, 2, v6
	v_max_num_f32_e32 v7, v7, v9
	ds_bpermute_b32 v9, v12, v7
	s_wait_dscnt 0x0
	v_max_num_f32_e32 v9, v9, v9
	s_delay_alu instid0(VALU_DEP_1) | instskip(SKIP_3) | instid1(VALU_DEP_1)
	v_max_num_f32_e32 v7, v7, v9
	ds_bpermute_b32 v9, v13, v7
	s_wait_dscnt 0x0
	v_max_num_f32_e32 v9, v9, v9
	v_max_num_f32_e32 v6, v7, v9
	ds_bpermute_b32 v7, v14, v6
	s_wait_dscnt 0x0
	v_max_num_f32_e32 v7, v7, v7
	s_delay_alu instid0(VALU_DEP_1) | instskip(NEXT) | instid1(VALU_DEP_1)
	v_max_num_f32_e32 v6, v6, v7
	v_sub_f32_e32 v9, v1, v6
	s_delay_alu instid0(VALU_DEP_1) | instskip(SKIP_1) | instid1(VALU_DEP_2)
	v_mul_f32_e32 v15, 0x3fb8aa3b, v9
	v_sub_f32_e32 v7, v8, v6
	v_rndne_f32_e32 v19, v15
	s_delay_alu instid0(VALU_DEP_2) | instskip(SKIP_1) | instid1(VALU_DEP_3)
	v_mul_f32_e32 v6, 0x3fb8aa3b, v7
	v_fma_f32 v18, 0x3fb8aa3b, v9, -v15
	v_sub_f32_e32 v15, v15, v19
	s_delay_alu instid0(VALU_DEP_3) | instskip(SKIP_1) | instid1(VALU_DEP_4)
	v_fma_f32 v16, 0x3fb8aa3b, v7, -v6
	v_rndne_f32_e32 v17, v6
	v_fmac_f32_e32 v18, 0x32a5705f, v9
	s_delay_alu instid0(VALU_DEP_2) | instskip(NEXT) | instid1(VALU_DEP_2)
	v_sub_f32_e32 v6, v6, v17
	v_dual_fmac_f32 v16, 0x32a5705f, v7 :: v_dual_add_f32 v15, v15, v18
	v_cmp_ngt_f32_e32 vcc_lo, 0xc2ce8ed0, v7
	s_delay_alu instid0(VALU_DEP_2) | instskip(SKIP_1) | instid1(VALU_DEP_4)
	v_add_f32_e32 v6, v6, v16
	v_cvt_i32_f32_e32 v16, v17
	v_exp_f32_e32 v15, v15
	v_cvt_i32_f32_e32 v17, v19
	s_delay_alu instid0(VALU_DEP_3)
	v_exp_f32_e32 v6, v6
	s_delay_alu instid0(TRANS32_DEP_2) | instid1(VALU_DEP_1)
	v_ldexp_f32 v15, v15, v17
	s_delay_alu instid0(TRANS32_DEP_1) | instskip(NEXT) | instid1(VALU_DEP_1)
	v_ldexp_f32 v6, v6, v16
	v_cndmask_b32_e32 v6, 0, v6, vcc_lo
	v_cmp_ngt_f32_e32 vcc_lo, 0xc2ce8ed0, v9
	s_delay_alu instid0(VALU_DEP_4) | instskip(SKIP_1) | instid1(VALU_DEP_4)
	v_cndmask_b32_e32 v15, 0, v15, vcc_lo
	v_cmp_nlt_f32_e32 vcc_lo, 0x42b17218, v7
	v_cndmask_b32_e32 v6, 0x7f800000, v6, vcc_lo
	v_cmp_nlt_f32_e32 vcc_lo, 0x42b17218, v9
	s_delay_alu instid0(VALU_DEP_4) | instskip(NEXT) | instid1(VALU_DEP_1)
	v_cndmask_b32_e32 v7, 0x7f800000, v15, vcc_lo
	v_add_f32_e32 v9, v6, v7
	ds_bpermute_b32 v10, v10, v9
	s_wait_dscnt 0x0
	v_add_f32_e32 v9, v9, v10
	ds_bpermute_b32 v10, v11, v9
	s_wait_dscnt 0x0
	;; [unrolled: 3-line block ×5, first 2 shown]
	v_add_f32_e32 v9, v9, v10
	s_delay_alu instid0(VALU_DEP_1) | instskip(NEXT) | instid1(VALU_DEP_1)
	v_div_scale_f32 v10, null, v9, v9, 1.0
	v_rcp_f32_e32 v11, v10
	v_nop
	s_delay_alu instid0(TRANS32_DEP_1) | instskip(NEXT) | instid1(VALU_DEP_1)
	v_fma_f32 v12, -v10, v11, 1.0
	v_fmac_f32_e32 v11, v12, v11
	v_div_scale_f32 v12, vcc_lo, 1.0, v9, 1.0
	s_delay_alu instid0(VALU_DEP_1) | instskip(NEXT) | instid1(VALU_DEP_1)
	v_mul_f32_e32 v13, v12, v11
	v_fma_f32 v14, -v10, v13, v12
	s_delay_alu instid0(VALU_DEP_1) | instskip(NEXT) | instid1(VALU_DEP_1)
	v_fmac_f32_e32 v13, v14, v11
	v_fma_f32 v10, -v10, v13, v12
	s_delay_alu instid0(VALU_DEP_1) | instskip(NEXT) | instid1(VALU_DEP_1)
	v_div_fmas_f32 v10, v10, v11, v13
	v_div_fixup_f32 v10, v10, v9, 1.0
	s_delay_alu instid0(VALU_DEP_1)
	v_pk_mul_f32 v[6:7], v[6:7], v[10:11] op_sel_hi:[1,0]
	s_and_not1_b32 vcc_lo, exec_lo, s1
	s_cbranch_vccz .LBB17_5
	s_branch .LBB17_6
.LBB17_4:
                                        ; implicit-def: $vgpr7
.LBB17_5:
	s_wait_loadcnt 0x0
	v_dual_mul_f32 v6, 0xbfb8aa3b, v8 :: v_dual_mul_f32 v7, 0xbfb8aa3b, v1
	v_cmp_nlt_f32_e32 vcc_lo, 0x42ce8ed0, v8
	s_delay_alu instid0(VALU_DEP_2) | instskip(SKIP_1) | instid1(VALU_DEP_4)
	v_rndne_f32_e32 v9, v6
	v_fma_f32 v10, 0xbfb8aa3b, v8, -v6
	v_rndne_f32_e32 v11, v7
	v_fma_f32 v12, 0xbfb8aa3b, v1, -v7
	s_delay_alu instid0(VALU_DEP_4) | instskip(NEXT) | instid1(VALU_DEP_3)
	v_sub_f32_e32 v6, v6, v9
	v_dual_fmac_f32 v10, 0xb2a5705f, v8 :: v_dual_sub_f32 v7, v7, v11
	s_delay_alu instid0(VALU_DEP_3) | instskip(SKIP_1) | instid1(VALU_DEP_3)
	v_fmac_f32_e32 v12, 0xb2a5705f, v1
	v_cvt_i32_f32_e32 v9, v9
	v_add_f32_e32 v6, v6, v10
	v_cvt_i32_f32_e32 v10, v11
	s_delay_alu instid0(VALU_DEP_4) | instskip(NEXT) | instid1(VALU_DEP_3)
	v_add_f32_e32 v7, v7, v12
	v_exp_f32_e32 v6, v6
	s_delay_alu instid0(VALU_DEP_1) | instskip(NEXT) | instid1(TRANS32_DEP_2)
	v_exp_f32_e32 v7, v7
	v_ldexp_f32 v6, v6, v9
	s_delay_alu instid0(TRANS32_DEP_1) | instskip(NEXT) | instid1(VALU_DEP_2)
	v_ldexp_f32 v7, v7, v10
	v_cndmask_b32_e32 v6, 0, v6, vcc_lo
	v_cmp_nlt_f32_e32 vcc_lo, 0x42ce8ed0, v1
	s_delay_alu instid0(VALU_DEP_3) | instskip(SKIP_1) | instid1(VALU_DEP_4)
	v_cndmask_b32_e32 v7, 0, v7, vcc_lo
	v_cmp_ngt_f32_e32 vcc_lo, 0xc2b17218, v8
	v_cndmask_b32_e32 v6, 0x7f800000, v6, vcc_lo
	v_cmp_ngt_f32_e32 vcc_lo, 0xc2b17218, v1
	s_delay_alu instid0(VALU_DEP_4) | instskip(NEXT) | instid1(VALU_DEP_1)
	v_cndmask_b32_e32 v7, 0x7f800000, v7, vcc_lo
	v_pk_add_f32 v[6:7], v[6:7], 1.0 op_sel_hi:[1,0]
	s_delay_alu instid0(VALU_DEP_1) | instskip(NEXT) | instid1(VALU_DEP_2)
	v_div_scale_f32 v1, null, v6, v6, 1.0
	v_div_scale_f32 v8, null, v7, v7, 1.0
	v_div_scale_f32 v13, vcc_lo, 1.0, v6, 1.0
	s_delay_alu instid0(VALU_DEP_3) | instskip(NEXT) | instid1(VALU_DEP_2)
	v_rcp_f32_e32 v9, v1
	v_rcp_f32_e32 v10, v8
	s_delay_alu instid0(TRANS32_DEP_2) | instskip(NEXT) | instid1(TRANS32_DEP_1)
	v_fma_f32 v11, -v1, v9, 1.0
	v_fma_f32 v12, -v8, v10, 1.0
	s_delay_alu instid0(VALU_DEP_2) | instskip(SKIP_1) | instid1(VALU_DEP_2)
	v_fmac_f32_e32 v9, v11, v9
	v_div_scale_f32 v11, s1, 1.0, v7, 1.0
	v_dual_fmac_f32 v10, v12, v10 :: v_dual_mul_f32 v12, v13, v9
	s_delay_alu instid0(VALU_DEP_1) | instskip(NEXT) | instid1(VALU_DEP_1)
	v_dual_mul_f32 v14, v11, v10 :: v_dual_fma_f32 v15, -v1, v12, v13
	v_dual_fma_f32 v16, -v8, v14, v11 :: v_dual_fmac_f32 v12, v15, v9
	s_delay_alu instid0(VALU_DEP_1) | instskip(NEXT) | instid1(VALU_DEP_1)
	v_dual_fmac_f32 v14, v16, v10 :: v_dual_fma_f32 v1, -v1, v12, v13
	v_fma_f32 v8, -v8, v14, v11
	s_delay_alu instid0(VALU_DEP_2) | instskip(SKIP_1) | instid1(VALU_DEP_2)
	v_div_fmas_f32 v1, v1, v9, v12
	s_mov_b32 vcc_lo, s1
	v_div_fmas_f32 v8, v8, v10, v14
	s_delay_alu instid0(VALU_DEP_2) | instskip(NEXT) | instid1(VALU_DEP_2)
	v_div_fixup_f32 v6, v1, v6, 1.0
	v_div_fixup_f32 v7, v8, v7, 1.0
.LBB17_6:
	s_wait_loadcnt 0x0
	s_delay_alu instid0(VALU_DEP_1)
	v_dual_mov_b32 v8, v6 :: v_dual_mov_b32 v1, v7
.LBB17_7:
	s_lshr_b32 s1, s4, 8
	s_cmp_gt_i32 s5, 0
	s_mov_b32 s8, 0
	s_cbranch_scc1 .LBB17_19
; %bb.8:
	s_bitcmp1_b32 s1, 0
	s_cselect_b32 s4, -1, 0
	v_add_nc_u32_e32 v9, 32, v2
	s_wait_xcnt 0x0
	v_mbcnt_lo_u32_b32 v10, -1, 0
	s_and_not1_b32 vcc_lo, exec_lo, s8
	s_cbranch_vccz .LBB17_20
; %bb.9:
	v_mov_b64_e32 v[4:5], 0
	v_mov_b32_e32 v11, 0
.LBB17_10:
	s_and_b32 vcc_lo, exec_lo, s4
	s_cbranch_vccz .LBB17_12
; %bb.11:
	v_xor_b32_e32 v7, 4, v10
	s_wait_loadcnt 0x0
	v_xor_b32_e32 v1, 16, v10
	v_xor_b32_e32 v6, 8, v10
	s_delay_alu instid0(VALU_DEP_2) | instskip(SKIP_1) | instid1(VALU_DEP_3)
	v_cmp_gt_i32_e32 vcc_lo, 32, v1
	v_cndmask_b32_e32 v1, v10, v1, vcc_lo
	v_cmp_gt_i32_e32 vcc_lo, 32, v6
	s_delay_alu instid0(VALU_DEP_2)
	v_dual_cndmask_b32 v6, v10, v6 :: v_dual_lshlrev_b32 v1, 2, v1
	v_cmp_gt_i32_e32 vcc_lo, 32, v7
	ds_bpermute_b32 v1, v1, v11
	v_dual_cndmask_b32 v7, v10, v7 :: v_dual_lshlrev_b32 v6, 2, v6
	s_wait_dscnt 0x0
	v_add_f32_e32 v1, v11, v1
	ds_bpermute_b32 v6, v6, v1
	s_wait_dscnt 0x0
	v_dual_lshlrev_b32 v7, 2, v7 :: v_dual_add_f32 v1, v1, v6
	ds_bpermute_b32 v6, v7, v1
	v_xor_b32_e32 v7, 2, v10
	s_delay_alu instid0(VALU_DEP_1) | instskip(SKIP_2) | instid1(VALU_DEP_1)
	v_cmp_gt_i32_e32 vcc_lo, 32, v7
	s_wait_dscnt 0x0
	v_dual_cndmask_b32 v7, v10, v7, vcc_lo :: v_dual_add_f32 v1, v1, v6
	v_lshlrev_b32_e32 v7, 2, v7
	ds_bpermute_b32 v6, v7, v1
	v_xor_b32_e32 v7, 1, v10
	s_delay_alu instid0(VALU_DEP_1) | instskip(SKIP_2) | instid1(VALU_DEP_1)
	v_cmp_gt_i32_e32 vcc_lo, 32, v7
	s_wait_dscnt 0x0
	v_dual_add_f32 v1, v1, v6 :: v_dual_cndmask_b32 v7, v10, v7, vcc_lo
	v_lshlrev_b32_e32 v7, 2, v7
	ds_bpermute_b32 v6, v7, v1
	v_max_num_f32_e64 v7, s6, s6
	s_wait_dscnt 0x0
	v_add_f32_e32 v1, v1, v6
	s_delay_alu instid0(VALU_DEP_1) | instskip(NEXT) | instid1(VALU_DEP_1)
	v_max_num_f32_e32 v1, v1, v7
	v_div_scale_f32 v6, null, v1, v1, 1.0
	s_delay_alu instid0(VALU_DEP_1) | instskip(SKIP_1) | instid1(TRANS32_DEP_1)
	v_rcp_f32_e32 v7, v6
	v_nop
	v_fma_f32 v8, -v6, v7, 1.0
	s_delay_alu instid0(VALU_DEP_1) | instskip(SKIP_1) | instid1(VALU_DEP_1)
	v_fmac_f32_e32 v7, v8, v7
	v_div_scale_f32 v8, vcc_lo, 1.0, v1, 1.0
	v_mul_f32_e32 v11, v8, v7
	s_delay_alu instid0(VALU_DEP_1) | instskip(NEXT) | instid1(VALU_DEP_1)
	v_fma_f32 v12, -v6, v11, v8
	v_fmac_f32_e32 v11, v12, v7
	s_delay_alu instid0(VALU_DEP_1) | instskip(NEXT) | instid1(VALU_DEP_1)
	v_fma_f32 v6, -v6, v11, v8
	v_div_fmas_f32 v6, v6, v7, v11
	s_delay_alu instid0(VALU_DEP_1) | instskip(NEXT) | instid1(VALU_DEP_1)
	v_div_fixup_f32 v6, v6, v1, 1.0
	v_pk_mul_f32 v[4:5], v[6:7], v[4:5] op_sel_hi:[0,1]
.LBB17_12:
	v_cmp_gt_i32_e64 s1, s5, v9
	s_and_not1_b32 vcc_lo, exec_lo, s0
	s_cbranch_vccnz .LBB17_14
; %bb.13:
	s_wait_loadcnt 0x0
	v_dual_max_num_f32 v1, v4, v4 :: v_dual_bitop2_b32 v7, 16, v10 bitop3:0x14
	v_dual_max_num_f32 v6, v5, v5 :: v_dual_bitop2_b32 v13, 1, v10 bitop3:0x14
	v_xor_b32_e32 v12, 2, v10
	s_delay_alu instid0(VALU_DEP_3) | instskip(SKIP_4) | instid1(VALU_DEP_3)
	v_cmp_gt_i32_e32 vcc_lo, 32, v7
	v_xor_b32_e32 v11, 4, v10
	v_xor_b32_e32 v8, 8, v10
	v_cmp_gt_i32_e64 s0, s5, v2
	v_cndmask_b32_e32 v7, v10, v7, vcc_lo
	v_cmp_gt_i32_e32 vcc_lo, 32, v8
	v_dual_max_num_f32 v1, 0xff800000, v1 :: v_dual_cndmask_b32 v8, v10, v8
	s_delay_alu instid0(VALU_DEP_1) | instskip(SKIP_1) | instid1(VALU_DEP_2)
	v_cndmask_b32_e64 v1, 0xff800000, v1, s0
	v_cmp_gt_i32_e32 vcc_lo, 32, v11
	v_dual_lshlrev_b32 v8, 2, v8 :: v_dual_max_num_f32 v6, v1, v6
	v_lshlrev_b32_e32 v7, 2, v7
	v_cndmask_b32_e32 v11, v10, v11, vcc_lo
	v_cmp_gt_i32_e32 vcc_lo, 32, v12
	s_delay_alu instid0(VALU_DEP_2) | instskip(SKIP_4) | instid1(VALU_DEP_1)
	v_dual_cndmask_b32 v1, v1, v6, s1 :: v_dual_lshlrev_b32 v11, 2, v11
	v_cndmask_b32_e32 v12, v10, v12, vcc_lo
	v_cmp_gt_i32_e32 vcc_lo, 32, v13
	ds_bpermute_b32 v6, v7, v1
	v_cndmask_b32_e32 v10, v10, v13, vcc_lo
	v_lshlrev_b32_e32 v10, 2, v10
	s_wait_dscnt 0x0
	v_max_num_f32_e32 v6, v6, v6
	s_delay_alu instid0(VALU_DEP_1) | instskip(SKIP_3) | instid1(VALU_DEP_1)
	v_max_num_f32_e32 v1, v1, v6
	ds_bpermute_b32 v6, v8, v1
	s_wait_dscnt 0x0
	v_max_num_f32_e32 v6, v6, v6
	v_max_num_f32_e32 v1, v1, v6
	ds_bpermute_b32 v6, v11, v1
	s_wait_dscnt 0x0
	v_dual_max_num_f32 v6, v6, v6 :: v_dual_lshlrev_b32 v12, 2, v12
	s_delay_alu instid0(VALU_DEP_1) | instskip(SKIP_3) | instid1(VALU_DEP_1)
	v_max_num_f32_e32 v1, v1, v6
	ds_bpermute_b32 v6, v12, v1
	s_wait_dscnt 0x0
	v_max_num_f32_e32 v6, v6, v6
	v_max_num_f32_e32 v1, v1, v6
	ds_bpermute_b32 v6, v10, v1
	s_wait_dscnt 0x0
	v_max_num_f32_e32 v6, v6, v6
	s_delay_alu instid0(VALU_DEP_1) | instskip(NEXT) | instid1(VALU_DEP_1)
	v_max_num_f32_e32 v1, v1, v6
	v_dual_sub_f32 v4, v4, v1 :: v_dual_sub_f32 v1, v5, v1
	s_delay_alu instid0(VALU_DEP_1) | instskip(SKIP_1) | instid1(VALU_DEP_2)
	v_mul_f32_e32 v5, 0x3fb8aa3b, v4
	v_cmp_ngt_f32_e32 vcc_lo, 0xc2ce8ed0, v4
	v_rndne_f32_e32 v14, v5
	v_fma_f32 v13, 0x3fb8aa3b, v4, -v5
	s_delay_alu instid0(VALU_DEP_2) | instskip(NEXT) | instid1(VALU_DEP_1)
	v_dual_sub_f32 v5, v5, v14 :: v_dual_mul_f32 v6, 0x3fb8aa3b, v1
	v_fma_f32 v15, 0x3fb8aa3b, v1, -v6
	v_rndne_f32_e32 v16, v6
	s_delay_alu instid0(VALU_DEP_1) | instskip(NEXT) | instid1(VALU_DEP_1)
	v_dual_fmac_f32 v15, 0x32a5705f, v1 :: v_dual_sub_f32 v6, v6, v16
	v_dual_fmac_f32 v13, 0x32a5705f, v4 :: v_dual_add_f32 v6, v6, v15
	s_delay_alu instid0(VALU_DEP_1) | instskip(SKIP_2) | instid1(VALU_DEP_4)
	v_add_f32_e32 v5, v5, v13
	v_cvt_i32_f32_e32 v13, v14
	v_cvt_i32_f32_e32 v14, v16
	v_exp_f32_e32 v6, v6
	s_delay_alu instid0(VALU_DEP_3) | instskip(NEXT) | instid1(TRANS32_DEP_2)
	v_exp_f32_e32 v5, v5
	v_ldexp_f32 v6, v6, v14
	s_delay_alu instid0(TRANS32_DEP_1) | instskip(NEXT) | instid1(VALU_DEP_1)
	v_ldexp_f32 v5, v5, v13
	v_cndmask_b32_e32 v5, 0, v5, vcc_lo
	v_cmp_ngt_f32_e32 vcc_lo, 0xc2ce8ed0, v1
	s_delay_alu instid0(VALU_DEP_4) | instskip(SKIP_1) | instid1(VALU_DEP_4)
	v_cndmask_b32_e32 v6, 0, v6, vcc_lo
	v_cmp_nlt_f32_e32 vcc_lo, 0x42b17218, v4
	v_cndmask_b32_e32 v4, 0x7f800000, v5, vcc_lo
	v_cmp_nlt_f32_e32 vcc_lo, 0x42b17218, v1
	s_delay_alu instid0(VALU_DEP_2) | instskip(SKIP_1) | instid1(VALU_DEP_1)
	v_cndmask_b32_e64 v4, 0, v4, s0
	v_cndmask_b32_e32 v1, 0x7f800000, v6, vcc_lo
	v_add_f32_e32 v5, v1, v4
	s_delay_alu instid0(VALU_DEP_1)
	v_cndmask_b32_e64 v5, v4, v5, s1
	ds_bpermute_b32 v6, v7, v5
	s_wait_dscnt 0x0
	v_add_f32_e32 v5, v5, v6
	ds_bpermute_b32 v6, v8, v5
	s_wait_dscnt 0x0
	v_add_f32_e32 v5, v5, v6
	;; [unrolled: 3-line block ×5, first 2 shown]
	s_delay_alu instid0(VALU_DEP_1) | instskip(SKIP_1) | instid1(VALU_DEP_2)
	v_div_scale_f32 v6, null, v5, v5, 1.0
	v_div_scale_f32 v10, vcc_lo, 1.0, v5, 1.0
	v_rcp_f32_e32 v7, v6
	v_nop
	s_delay_alu instid0(TRANS32_DEP_1) | instskip(NEXT) | instid1(VALU_DEP_1)
	v_fma_f32 v8, -v6, v7, 1.0
	v_fmac_f32_e32 v7, v8, v7
	s_delay_alu instid0(VALU_DEP_1) | instskip(NEXT) | instid1(VALU_DEP_1)
	v_dual_mul_f32 v8, v10, v7 :: v_dual_cndmask_b32 v1, 0, v1, s1
	v_fma_f32 v11, -v6, v8, v10
	s_delay_alu instid0(VALU_DEP_1) | instskip(NEXT) | instid1(VALU_DEP_1)
	v_fmac_f32_e32 v8, v11, v7
	v_fma_f32 v6, -v6, v8, v10
	s_delay_alu instid0(VALU_DEP_1) | instskip(NEXT) | instid1(VALU_DEP_1)
	v_div_fmas_f32 v6, v6, v7, v8
	v_div_fixup_f32 v5, v6, v5, 1.0
	s_delay_alu instid0(VALU_DEP_1) | instskip(NEXT) | instid1(VALU_DEP_1)
	v_dual_mul_f32 v6, v4, v5 :: v_dual_mul_f32 v5, v1, v5
	v_dual_cndmask_b32 v4, v4, v6, s0 :: v_dual_cndmask_b32 v5, v1, v5, s1
.LBB17_14:
	v_mul_lo_u32 v6, v3, s5
	s_mov_b32 s0, exec_lo
	s_delay_alu instid0(VALU_DEP_1) | instskip(NEXT) | instid1(VALU_DEP_1)
	v_ashrrev_i32_e32 v7, 31, v6
	v_lshl_add_u64 v[6:7], v[6:7], 2, s[10:11]
	v_cmpx_gt_i32_e64 s5, v2
	s_cbranch_execz .LBB17_16
; %bb.15:
	s_wait_loadcnt 0x0
	v_mov_b32_e32 v1, 0
	s_delay_alu instid0(VALU_DEP_1)
	v_add_nc_u64_e32 v[2:3], v[6:7], v[0:1]
	v_mul_f32_e32 v1, s7, v4
	global_store_b32 v[2:3], v1, off
.LBB17_16:
	s_wait_xcnt 0x0
	s_or_b32 exec_lo, exec_lo, s0
	v_cmp_gt_i32_e32 vcc_lo, s5, v9
	s_and_b32 exec_lo, exec_lo, vcc_lo
	s_cbranch_execz .LBB17_18
; %bb.17:
	s_wait_loadcnt 0x0
	v_dual_mov_b32 v1, 0 :: v_dual_mul_f32 v2, s7, v5
	s_delay_alu instid0(VALU_DEP_1)
	v_add_nc_u64_e32 v[0:1], v[6:7], v[0:1]
	global_store_b32 v[0:1], v2, off offset:128
.LBB17_18:
	s_endpgm
.LBB17_19:
                                        ; implicit-def: $sgpr4
	v_add_nc_u32_e32 v9, 32, v2
	s_wait_xcnt 0x0
	v_mbcnt_lo_u32_b32 v10, -1, 0
.LBB17_20:
	s_wait_loadcnt 0x1
	v_cmp_o_f32_e32 vcc_lo, v8, v8
	v_lshl_add_u64 v[6:7], v[4:5], 2, s[2:3]
	s_delay_alu instid0(VALU_DEP_3)
	v_xor_b32_e32 v5, 8, v10
	v_xor_b32_e32 v4, 16, v10
	;; [unrolled: 1-line block ×3, first 2 shown]
	v_cndmask_b32_e32 v8, 0xff7fffff, v8, vcc_lo
	s_wait_loadcnt 0x0
	v_cmp_o_f32_e32 vcc_lo, v1, v1
	v_xor_b32_e32 v11, 4, v10
	s_bitcmp1_b32 s1, 0
	s_mov_b32 s2, 0
	s_cselect_b32 s4, -1, 0
	v_cndmask_b32_e32 v1, 0xff7fffff, v1, vcc_lo
	v_cmp_gt_i32_e32 vcc_lo, 32, v4
	v_cndmask_b32_e32 v4, v10, v4, vcc_lo
	v_cmp_gt_i32_e32 vcc_lo, 32, v5
	;; [unrolled: 2-line block ×3, first 2 shown]
	v_dual_cndmask_b32 v11, v10, v11, vcc_lo :: v_dual_bitop2_b32 v13, 1, v10 bitop3:0x14
	v_cmp_gt_i32_e32 vcc_lo, 32, v12
	s_delay_alu instid0(VALU_DEP_2) | instskip(SKIP_1) | instid1(VALU_DEP_4)
	v_dual_mov_b32 v11, 0 :: v_dual_lshlrev_b32 v14, 2, v11
	v_cndmask_b32_e32 v15, v10, v12, vcc_lo
	v_cmp_gt_i32_e32 vcc_lo, 32, v13
	v_dual_lshlrev_b32 v12, 2, v4 :: v_dual_mov_b32 v4, 0
	s_delay_alu instid0(VALU_DEP_3) | instskip(SKIP_1) | instid1(VALU_DEP_2)
	v_dual_cndmask_b32 v16, v10, v13 :: v_dual_lshlrev_b32 v15, 2, v15
	v_dual_lshlrev_b32 v13, 2, v5 :: v_dual_mov_b32 v5, 0
	v_lshlrev_b32_e32 v16, 2, v16
	s_branch .LBB17_22
.LBB17_21:                              ;   in Loop: Header=BB17_22 Depth=1
	s_wait_xcnt 0x0
	s_or_b32 exec_lo, exec_lo, s1
	s_lshr_b32 s1, s2, 5
	s_and_b32 s3, s2, 31
	s_cmp_eq_u32 s1, 0
	v_add_nc_u64_e32 v[6:7], 4, v[6:7]
	s_cselect_b32 vcc_lo, -1, 0
	s_cmp_eq_u32 s1, 1
	v_cndmask_b32_e32 v18, v4, v17, vcc_lo
	s_cselect_b32 vcc_lo, -1, 0
	s_add_co_i32 s2, s2, 1
	v_cndmask_b32_e32 v17, v5, v17, vcc_lo
	v_cmp_eq_u32_e32 vcc_lo, s3, v2
	s_cmp_eq_u32 s5, s2
	s_delay_alu instid0(VALU_DEP_2)
	v_dual_cndmask_b32 v5, v5, v17 :: v_dual_cndmask_b32 v4, v4, v18
	s_cbranch_scc1 .LBB17_10
.LBB17_22:                              ; =>This Inner Loop Header: Depth=1
	v_cmp_gt_f32_e32 vcc_lo, v1, v8
	s_mov_b32 s8, exec_lo
	v_cndmask_b32_e32 v17, v8, v1, vcc_lo
	v_cndmask_b32_e32 v18, v2, v9, vcc_lo
	ds_bpermute_b32 v19, v12, v17
	s_wait_dscnt 0x1
	ds_bpermute_b32 v20, v12, v18
	s_wait_dscnt 0x1
	v_cmp_lt_f32_e64 s3, v17, v19
	v_cmpx_nlt_f32_e32 v17, v19
	s_cbranch_execz .LBB17_24
; %bb.23:                               ;   in Loop: Header=BB17_22 Depth=1
	v_cmp_eq_f32_e32 vcc_lo, v17, v19
	s_wait_dscnt 0x0
	v_cmp_lt_i32_e64 s1, v20, v18
	s_and_not1_b32 s3, s3, exec_lo
	s_and_b32 s1, vcc_lo, s1
	s_delay_alu instid0(SALU_CYCLE_1) | instskip(NEXT) | instid1(SALU_CYCLE_1)
	s_and_b32 s1, s1, exec_lo
	s_or_b32 s3, s3, s1
.LBB17_24:                              ;   in Loop: Header=BB17_22 Depth=1
	s_or_b32 exec_lo, exec_lo, s8
	s_and_saveexec_b32 s1, s3
	s_cbranch_execz .LBB17_26
; %bb.25:                               ;   in Loop: Header=BB17_22 Depth=1
	s_wait_dscnt 0x0
	v_dual_mov_b32 v17, v19 :: v_dual_mov_b32 v18, v20
.LBB17_26:                              ;   in Loop: Header=BB17_22 Depth=1
	s_or_b32 exec_lo, exec_lo, s1
	s_wait_dscnt 0x0
	ds_bpermute_b32 v20, v13, v17
	ds_bpermute_b32 v19, v13, v18
	s_mov_b32 s8, exec_lo
	s_wait_dscnt 0x1
	v_cmp_lt_f32_e64 s3, v17, v20
	v_cmpx_nlt_f32_e32 v17, v20
	s_cbranch_execz .LBB17_28
; %bb.27:                               ;   in Loop: Header=BB17_22 Depth=1
	v_cmp_eq_f32_e32 vcc_lo, v17, v20
	s_wait_dscnt 0x0
	v_cmp_lt_i32_e64 s1, v19, v18
	s_and_not1_b32 s3, s3, exec_lo
	s_and_b32 s1, vcc_lo, s1
	s_delay_alu instid0(SALU_CYCLE_1) | instskip(NEXT) | instid1(SALU_CYCLE_1)
	s_and_b32 s1, s1, exec_lo
	s_or_b32 s3, s3, s1
.LBB17_28:                              ;   in Loop: Header=BB17_22 Depth=1
	s_or_b32 exec_lo, exec_lo, s8
	s_and_saveexec_b32 s1, s3
	s_cbranch_execz .LBB17_30
; %bb.29:                               ;   in Loop: Header=BB17_22 Depth=1
	s_wait_dscnt 0x0
	v_dual_mov_b32 v17, v20 :: v_dual_mov_b32 v18, v19
.LBB17_30:                              ;   in Loop: Header=BB17_22 Depth=1
	s_or_b32 exec_lo, exec_lo, s1
	ds_bpermute_b32 v20, v14, v17
	s_wait_dscnt 0x1
	ds_bpermute_b32 v19, v14, v18
	s_mov_b32 s8, exec_lo
	s_wait_dscnt 0x1
	v_cmp_lt_f32_e64 s3, v17, v20
	v_cmpx_nlt_f32_e32 v17, v20
	s_cbranch_execz .LBB17_32
; %bb.31:                               ;   in Loop: Header=BB17_22 Depth=1
	v_cmp_eq_f32_e32 vcc_lo, v17, v20
	s_wait_dscnt 0x0
	v_cmp_lt_i32_e64 s1, v19, v18
	s_and_not1_b32 s3, s3, exec_lo
	s_and_b32 s1, vcc_lo, s1
	s_delay_alu instid0(SALU_CYCLE_1) | instskip(NEXT) | instid1(SALU_CYCLE_1)
	s_and_b32 s1, s1, exec_lo
	s_or_b32 s3, s3, s1
.LBB17_32:                              ;   in Loop: Header=BB17_22 Depth=1
	s_or_b32 exec_lo, exec_lo, s8
	s_and_saveexec_b32 s1, s3
	s_cbranch_execz .LBB17_34
; %bb.33:                               ;   in Loop: Header=BB17_22 Depth=1
	s_wait_dscnt 0x0
	v_dual_mov_b32 v17, v20 :: v_dual_mov_b32 v18, v19
.LBB17_34:                              ;   in Loop: Header=BB17_22 Depth=1
	s_or_b32 exec_lo, exec_lo, s1
	ds_bpermute_b32 v20, v15, v17
	s_wait_dscnt 0x1
	ds_bpermute_b32 v19, v15, v18
	s_mov_b32 s8, exec_lo
	s_wait_dscnt 0x1
	v_cmp_lt_f32_e64 s3, v17, v20
	v_cmpx_nlt_f32_e32 v17, v20
	s_cbranch_execz .LBB17_36
; %bb.35:                               ;   in Loop: Header=BB17_22 Depth=1
	v_cmp_eq_f32_e32 vcc_lo, v17, v20
	s_wait_dscnt 0x0
	v_cmp_lt_i32_e64 s1, v19, v18
	s_and_not1_b32 s3, s3, exec_lo
	s_and_b32 s1, vcc_lo, s1
	s_delay_alu instid0(SALU_CYCLE_1) | instskip(NEXT) | instid1(SALU_CYCLE_1)
	s_and_b32 s1, s1, exec_lo
	s_or_b32 s3, s3, s1
.LBB17_36:                              ;   in Loop: Header=BB17_22 Depth=1
	s_or_b32 exec_lo, exec_lo, s8
	s_and_saveexec_b32 s1, s3
	s_cbranch_execz .LBB17_38
; %bb.37:                               ;   in Loop: Header=BB17_22 Depth=1
	s_wait_dscnt 0x0
	v_dual_mov_b32 v17, v20 :: v_dual_mov_b32 v18, v19
.LBB17_38:                              ;   in Loop: Header=BB17_22 Depth=1
	s_or_b32 exec_lo, exec_lo, s1
	s_wait_dscnt 0x0
	ds_bpermute_b32 v19, v16, v17
	ds_bpermute_b32 v20, v16, v18
	s_mov_b32 s8, exec_lo
	s_wait_dscnt 0x1
	v_cmp_lt_f32_e64 s3, v17, v19
	v_cmpx_nlt_f32_e32 v17, v19
	s_cbranch_execz .LBB17_40
; %bb.39:                               ;   in Loop: Header=BB17_22 Depth=1
	v_cmp_eq_f32_e32 vcc_lo, v17, v19
	s_wait_dscnt 0x0
	v_cmp_lt_i32_e64 s1, v20, v18
	s_and_not1_b32 s3, s3, exec_lo
	s_and_b32 s1, vcc_lo, s1
	s_delay_alu instid0(SALU_CYCLE_1) | instskip(NEXT) | instid1(SALU_CYCLE_1)
	s_and_b32 s1, s1, exec_lo
	s_or_b32 s3, s3, s1
.LBB17_40:                              ;   in Loop: Header=BB17_22 Depth=1
	s_or_b32 exec_lo, exec_lo, s8
	s_and_saveexec_b32 s1, s3
	s_cbranch_execz .LBB17_42
; %bb.41:                               ;   in Loop: Header=BB17_22 Depth=1
	s_wait_dscnt 0x0
	v_dual_mov_b32 v17, v19 :: v_dual_mov_b32 v18, v20
.LBB17_42:                              ;   in Loop: Header=BB17_22 Depth=1
	s_or_b32 exec_lo, exec_lo, s1
	s_delay_alu instid0(VALU_DEP_1) | instskip(NEXT) | instid1(VALU_DEP_1)
	v_and_b32_e32 v19, 31, v18
	v_cmp_eq_u32_e32 vcc_lo, v19, v2
	s_and_saveexec_b32 s3, vcc_lo
	s_cbranch_execz .LBB17_44
; %bb.43:                               ;   in Loop: Header=BB17_22 Depth=1
	v_ashrrev_i32_e32 v19, 31, v18
	s_delay_alu instid0(VALU_DEP_1) | instskip(NEXT) | instid1(VALU_DEP_1)
	v_lshrrev_b32_e32 v19, 27, v19
	v_add_nc_u32_e32 v19, v18, v19
	s_delay_alu instid0(VALU_DEP_1) | instskip(NEXT) | instid1(VALU_DEP_1)
	v_ashrrev_i32_e32 v19, 5, v19
	v_cmp_ne_u32_e64 s1, 1, v19
	s_delay_alu instid0(VALU_DEP_1) | instskip(SKIP_1) | instid1(VALU_DEP_1)
	v_cndmask_b32_e64 v1, 0xff800000, v1, s1
	v_cmp_ne_u32_e64 s1, 0, v19
	v_cndmask_b32_e64 v8, 0xff800000, v8, s1
.LBB17_44:                              ;   in Loop: Header=BB17_22 Depth=1
	s_or_b32 exec_lo, exec_lo, s3
	s_and_saveexec_b32 s1, vcc_lo
	s_cbranch_execz .LBB17_21
; %bb.45:                               ;   in Loop: Header=BB17_22 Depth=1
	v_add_f32_e32 v19, v11, v17
	global_store_b32 v[6:7], v18, off
	v_cndmask_b32_e64 v11, v11, v19, s4
	s_branch .LBB17_21
	.section	.rodata,"a",@progbits
	.p2align	6, 0x0
	.amdhsa_kernel _Z13topk_moe_cudaILi64ELb0EEvPKfPfPiS2_iiff15topk_moe_config
		.amdhsa_group_segment_fixed_size 0
		.amdhsa_private_segment_fixed_size 0
		.amdhsa_kernarg_size 312
		.amdhsa_user_sgpr_count 2
		.amdhsa_user_sgpr_dispatch_ptr 0
		.amdhsa_user_sgpr_queue_ptr 0
		.amdhsa_user_sgpr_kernarg_segment_ptr 1
		.amdhsa_user_sgpr_dispatch_id 0
		.amdhsa_user_sgpr_kernarg_preload_length 0
		.amdhsa_user_sgpr_kernarg_preload_offset 0
		.amdhsa_user_sgpr_private_segment_size 0
		.amdhsa_wavefront_size32 1
		.amdhsa_uses_dynamic_stack 0
		.amdhsa_enable_private_segment 0
		.amdhsa_system_sgpr_workgroup_id_x 1
		.amdhsa_system_sgpr_workgroup_id_y 0
		.amdhsa_system_sgpr_workgroup_id_z 0
		.amdhsa_system_sgpr_workgroup_info 0
		.amdhsa_system_vgpr_workitem_id 1
		.amdhsa_next_free_vgpr 21
		.amdhsa_next_free_sgpr 12
		.amdhsa_named_barrier_count 0
		.amdhsa_reserve_vcc 1
		.amdhsa_float_round_mode_32 0
		.amdhsa_float_round_mode_16_64 0
		.amdhsa_float_denorm_mode_32 3
		.amdhsa_float_denorm_mode_16_64 3
		.amdhsa_fp16_overflow 0
		.amdhsa_memory_ordered 1
		.amdhsa_forward_progress 1
		.amdhsa_inst_pref_size 28
		.amdhsa_round_robin_scheduling 0
		.amdhsa_exception_fp_ieee_invalid_op 0
		.amdhsa_exception_fp_denorm_src 0
		.amdhsa_exception_fp_ieee_div_zero 0
		.amdhsa_exception_fp_ieee_overflow 0
		.amdhsa_exception_fp_ieee_underflow 0
		.amdhsa_exception_fp_ieee_inexact 0
		.amdhsa_exception_int_div_zero 0
	.end_amdhsa_kernel
	.section	.text._Z13topk_moe_cudaILi64ELb0EEvPKfPfPiS2_iiff15topk_moe_config,"axG",@progbits,_Z13topk_moe_cudaILi64ELb0EEvPKfPfPiS2_iiff15topk_moe_config,comdat
.Lfunc_end17:
	.size	_Z13topk_moe_cudaILi64ELb0EEvPKfPfPiS2_iiff15topk_moe_config, .Lfunc_end17-_Z13topk_moe_cudaILi64ELb0EEvPKfPfPiS2_iiff15topk_moe_config
                                        ; -- End function
	.set _Z13topk_moe_cudaILi64ELb0EEvPKfPfPiS2_iiff15topk_moe_config.num_vgpr, 21
	.set _Z13topk_moe_cudaILi64ELb0EEvPKfPfPiS2_iiff15topk_moe_config.num_agpr, 0
	.set _Z13topk_moe_cudaILi64ELb0EEvPKfPfPiS2_iiff15topk_moe_config.numbered_sgpr, 12
	.set _Z13topk_moe_cudaILi64ELb0EEvPKfPfPiS2_iiff15topk_moe_config.num_named_barrier, 0
	.set _Z13topk_moe_cudaILi64ELb0EEvPKfPfPiS2_iiff15topk_moe_config.private_seg_size, 0
	.set _Z13topk_moe_cudaILi64ELb0EEvPKfPfPiS2_iiff15topk_moe_config.uses_vcc, 1
	.set _Z13topk_moe_cudaILi64ELb0EEvPKfPfPiS2_iiff15topk_moe_config.uses_flat_scratch, 0
	.set _Z13topk_moe_cudaILi64ELb0EEvPKfPfPiS2_iiff15topk_moe_config.has_dyn_sized_stack, 0
	.set _Z13topk_moe_cudaILi64ELb0EEvPKfPfPiS2_iiff15topk_moe_config.has_recursion, 0
	.set _Z13topk_moe_cudaILi64ELb0EEvPKfPfPiS2_iiff15topk_moe_config.has_indirect_call, 0
	.section	.AMDGPU.csdata,"",@progbits
; Kernel info:
; codeLenInByte = 3516
; TotalNumSgprs: 14
; NumVgprs: 21
; ScratchSize: 0
; MemoryBound: 0
; FloatMode: 240
; IeeeMode: 1
; LDSByteSize: 0 bytes/workgroup (compile time only)
; SGPRBlocks: 0
; VGPRBlocks: 1
; NumSGPRsForWavesPerEU: 14
; NumVGPRsForWavesPerEU: 21
; NamedBarCnt: 0
; Occupancy: 16
; WaveLimiterHint : 1
; COMPUTE_PGM_RSRC2:SCRATCH_EN: 0
; COMPUTE_PGM_RSRC2:USER_SGPR: 2
; COMPUTE_PGM_RSRC2:TRAP_HANDLER: 0
; COMPUTE_PGM_RSRC2:TGID_X_EN: 1
; COMPUTE_PGM_RSRC2:TGID_Y_EN: 0
; COMPUTE_PGM_RSRC2:TGID_Z_EN: 0
; COMPUTE_PGM_RSRC2:TIDIG_COMP_CNT: 1
	.section	.text._Z13topk_moe_cudaILi128ELb0EEvPKfPfPiS2_iiff15topk_moe_config,"axG",@progbits,_Z13topk_moe_cudaILi128ELb0EEvPKfPfPiS2_iiff15topk_moe_config,comdat
	.protected	_Z13topk_moe_cudaILi128ELb0EEvPKfPfPiS2_iiff15topk_moe_config ; -- Begin function _Z13topk_moe_cudaILi128ELb0EEvPKfPfPiS2_iiff15topk_moe_config
	.globl	_Z13topk_moe_cudaILi128ELb0EEvPKfPfPiS2_iiff15topk_moe_config
	.p2align	8
	.type	_Z13topk_moe_cudaILi128ELb0EEvPKfPfPiS2_iiff15topk_moe_config,@function
_Z13topk_moe_cudaILi128ELb0EEvPKfPfPiS2_iiff15topk_moe_config: ; @_Z13topk_moe_cudaILi128ELb0EEvPKfPfPiS2_iiff15topk_moe_config
; %bb.0:
	s_clause 0x1
	s_load_u16 s2, s[0:1], 0x46
	s_load_b128 s[4:7], s[0:1], 0x20
	s_bfe_u32 s3, ttmp6, 0x4000c
	s_and_b32 s8, ttmp6, 15
	s_add_co_i32 s3, s3, 1
	v_bfe_u32 v1, v0, 10, 10
	s_mul_i32 s3, ttmp9, s3
	s_delay_alu instid0(SALU_CYCLE_1) | instskip(SKIP_1) | instid1(SALU_CYCLE_1)
	s_add_co_i32 s8, s8, s3
	s_getreg_b32 s3, hwreg(HW_REG_IB_STS2, 6, 4)
	s_cmp_eq_u32 s3, 0
	s_cselect_b32 s3, ttmp9, s8
	s_wait_kmcnt 0x0
	v_mad_u32 v14, s3, s2, v1
	s_mov_b32 s2, exec_lo
	s_delay_alu instid0(VALU_DEP_1)
	v_cmpx_gt_i32_e64 s4, v14
	s_cbranch_execz .LBB18_47
; %bb.1:
	s_load_b128 s[8:11], s[0:1], 0x0
	v_dual_mov_b32 v11, 0 :: v_dual_lshlrev_b32 v2, 7, v14
	v_and_b32_e32 v15, 0x3ff, v0
	s_load_b64 s[12:13], s[0:1], 0x10
	s_delay_alu instid0(VALU_DEP_2) | instskip(SKIP_4) | instid1(VALU_DEP_1)
	v_ashrrev_i32_e32 v3, 31, v2
	global_load_u8 v12, v11, s[0:1] offset:50
	v_lshlrev_b32_e32 v10, 2, v15
	s_wait_kmcnt 0x0
	v_lshl_add_u64 v[0:1], v[2:3], 2, s[8:9]
	v_add_nc_u64_e32 v[4:5], v[0:1], v[10:11]
	global_load_u16 v0, v11, s[0:1] offset:48
	s_clause 0x3
	global_load_b32 v9, v[4:5], off
	global_load_b32 v8, v[4:5], off offset:128
	global_load_b32 v7, v[4:5], off offset:256
	global_load_b32 v6, v[4:5], off offset:384
	s_wait_loadcnt 0x5
	v_and_b32_e32 v1, 1, v12
	s_wait_xcnt 0x4
	s_delay_alu instid0(VALU_DEP_1)
	v_cmp_eq_u32_e64 s0, 1, v1
	s_and_b32 vcc_lo, exec_lo, s0
	s_wait_loadcnt 0x4
	v_readfirstlane_b32 s1, v0
	s_and_b32 s4, 0xffff, s1
	s_cbranch_vccnz .LBB18_7
; %bb.2:
	v_and_b32_e32 v0, 1, v0
	s_mov_b32 s1, 0
	s_delay_alu instid0(VALU_DEP_1)
	v_cmp_eq_u32_e32 vcc_lo, 0, v0
	s_cbranch_vccz .LBB18_4
; %bb.3:
	v_mbcnt_lo_u32_b32 v0, -1, 0
	s_wait_loadcnt 0x2
	s_wait_xcnt 0x0
	v_max3_num_f32 v4, v9, 0xff800000, v8
	s_wait_loadcnt 0x0
	s_delay_alu instid0(VALU_DEP_1) | instskip(SKIP_2) | instid1(VALU_DEP_1)
	v_max3_num_f32 v4, v4, v7, v6
	v_xor_b32_e32 v5, 8, v0
	v_xor_b32_e32 v1, 16, v0
	v_cmp_gt_i32_e32 vcc_lo, 32, v1
	v_cndmask_b32_e32 v1, v0, v1, vcc_lo
	s_delay_alu instid0(VALU_DEP_4) | instskip(SKIP_1) | instid1(VALU_DEP_1)
	v_cmp_gt_i32_e32 vcc_lo, 32, v5
	v_cndmask_b32_e32 v5, v0, v5, vcc_lo
	v_dual_lshlrev_b32 v12, 2, v5 :: v_dual_bitop2_b32 v5, 4, v0 bitop3:0x14
	s_delay_alu instid0(VALU_DEP_4) | instskip(NEXT) | instid1(VALU_DEP_2)
	v_lshlrev_b32_e32 v11, 2, v1
	v_cmp_gt_i32_e32 vcc_lo, 32, v5
	ds_bpermute_b32 v1, v11, v4
	v_cndmask_b32_e32 v5, v0, v5, vcc_lo
	s_delay_alu instid0(VALU_DEP_1) | instskip(NEXT) | instid1(VALU_DEP_1)
	v_dual_lshlrev_b32 v13, 2, v5 :: v_dual_bitop2_b32 v5, 2, v0 bitop3:0x14
	v_cmp_gt_i32_e32 vcc_lo, 32, v5
	s_wait_dscnt 0x0
	v_max_num_f32_e32 v1, v1, v1
	v_cndmask_b32_e32 v5, v0, v5, vcc_lo
	s_delay_alu instid0(VALU_DEP_2) | instskip(NEXT) | instid1(VALU_DEP_2)
	v_max_num_f32_e32 v1, v4, v1
	v_dual_lshlrev_b32 v16, 2, v5 :: v_dual_bitop2_b32 v5, 1, v0 bitop3:0x14
	ds_bpermute_b32 v4, v12, v1
	v_cmp_gt_i32_e32 vcc_lo, 32, v5
	v_cndmask_b32_e32 v0, v0, v5, vcc_lo
	s_delay_alu instid0(VALU_DEP_1) | instskip(SKIP_2) | instid1(VALU_DEP_1)
	v_lshlrev_b32_e32 v17, 2, v0
	s_wait_dscnt 0x0
	v_max_num_f32_e32 v4, v4, v4
	v_max_num_f32_e32 v1, v1, v4
	ds_bpermute_b32 v4, v13, v1
	s_wait_dscnt 0x0
	v_max_num_f32_e32 v4, v4, v4
	s_delay_alu instid0(VALU_DEP_1) | instskip(SKIP_3) | instid1(VALU_DEP_1)
	v_max_num_f32_e32 v1, v1, v4
	ds_bpermute_b32 v4, v16, v1
	s_wait_dscnt 0x0
	v_max_num_f32_e32 v4, v4, v4
	v_max_num_f32_e32 v0, v1, v4
	ds_bpermute_b32 v1, v17, v0
	s_wait_dscnt 0x0
	v_max_num_f32_e32 v1, v1, v1
	s_delay_alu instid0(VALU_DEP_1) | instskip(NEXT) | instid1(VALU_DEP_1)
	v_max_num_f32_e32 v0, v0, v1
	v_sub_f32_e32 v19, v6, v0
	s_delay_alu instid0(VALU_DEP_1) | instskip(NEXT) | instid1(VALU_DEP_1)
	v_mul_f32_e32 v21, 0x3fb8aa3b, v19
	v_fma_f32 v28, 0x3fb8aa3b, v19, -v21
	v_rndne_f32_e32 v29, v21
	s_delay_alu instid0(VALU_DEP_1) | instskip(NEXT) | instid1(VALU_DEP_1)
	v_dual_fmac_f32 v28, 0x32a5705f, v19 :: v_dual_sub_f32 v21, v21, v29
	v_add_f32_e32 v21, v21, v28
	v_dual_sub_f32 v1, v9, v0 :: v_dual_sub_f32 v5, v8, v0
	v_sub_f32_e32 v18, v7, v0
	s_delay_alu instid0(VALU_DEP_3) | instskip(NEXT) | instid1(VALU_DEP_2)
	v_exp_f32_e32 v21, v21
	v_mul_f32_e32 v0, 0x3fb8aa3b, v1
	s_delay_alu instid0(VALU_DEP_3) | instskip(SKIP_1) | instid1(VALU_DEP_3)
	v_mul_f32_e32 v4, 0x3fb8aa3b, v5
	v_cmp_ngt_f32_e32 vcc_lo, 0xc2ce8ed0, v1
	v_fma_f32 v22, 0x3fb8aa3b, v1, -v0
	v_rndne_f32_e32 v23, v0
	s_delay_alu instid0(VALU_DEP_4) | instskip(SKIP_1) | instid1(VALU_DEP_4)
	v_rndne_f32_e32 v25, v4
	v_fma_f32 v24, 0x3fb8aa3b, v5, -v4
	v_fmac_f32_e32 v22, 0x32a5705f, v1
	s_delay_alu instid0(VALU_DEP_4) | instskip(NEXT) | instid1(VALU_DEP_4)
	v_sub_f32_e32 v0, v0, v23
	v_sub_f32_e32 v4, v4, v25
	s_delay_alu instid0(VALU_DEP_4) | instskip(SKIP_1) | instid1(VALU_DEP_4)
	v_fmac_f32_e32 v24, 0x32a5705f, v5
	v_cvt_i32_f32_e32 v23, v23
	v_add_f32_e32 v0, v0, v22
	v_cvt_i32_f32_e32 v22, v25
	v_cvt_i32_f32_e32 v25, v29
	v_add_f32_e32 v4, v4, v24
	s_delay_alu instid0(VALU_DEP_4) | instskip(NEXT) | instid1(VALU_DEP_2)
	v_exp_f32_e32 v0, v0
	v_ldexp_f32 v21, v21, v25
	v_mul_f32_e32 v20, 0x3fb8aa3b, v18
	s_delay_alu instid0(VALU_DEP_3) | instskip(NEXT) | instid1(TRANS32_DEP_2)
	v_exp_f32_e32 v4, v4
	v_ldexp_f32 v0, v0, v23
	s_delay_alu instid0(VALU_DEP_2) | instskip(SKIP_1) | instid1(TRANS32_DEP_1)
	v_fma_f32 v26, 0x3fb8aa3b, v18, -v20
	v_rndne_f32_e32 v27, v20
	v_ldexp_f32 v4, v4, v22
	s_delay_alu instid0(VALU_DEP_4) | instskip(NEXT) | instid1(VALU_DEP_4)
	v_cndmask_b32_e32 v0, 0, v0, vcc_lo
	v_fmac_f32_e32 v26, 0x32a5705f, v18
	s_delay_alu instid0(VALU_DEP_4) | instskip(SKIP_2) | instid1(VALU_DEP_3)
	v_sub_f32_e32 v20, v20, v27
	v_cvt_i32_f32_e32 v24, v27
	v_cmp_ngt_f32_e32 vcc_lo, 0xc2ce8ed0, v5
	v_dual_add_f32 v20, v20, v26 :: v_dual_cndmask_b32 v22, 0, v4, vcc_lo
	v_cmp_ngt_f32_e32 vcc_lo, 0xc2ce8ed0, v18
	s_delay_alu instid0(VALU_DEP_2) | instskip(SKIP_1) | instid1(TRANS32_DEP_1)
	v_exp_f32_e32 v20, v20
	v_nop
	v_ldexp_f32 v20, v20, v24
	s_delay_alu instid0(VALU_DEP_1)
	v_cndmask_b32_e32 v20, 0, v20, vcc_lo
	v_cmp_nlt_f32_e32 vcc_lo, 0x42b17218, v1
	v_cndmask_b32_e32 v4, 0x7f800000, v0, vcc_lo
	v_cmp_nlt_f32_e32 vcc_lo, 0x42b17218, v5
	v_cndmask_b32_e32 v5, 0x7f800000, v22, vcc_lo
	v_cmp_ngt_f32_e32 vcc_lo, 0xc2ce8ed0, v19
	v_cndmask_b32_e32 v1, 0, v21, vcc_lo
	v_cmp_nlt_f32_e32 vcc_lo, 0x42b17218, v18
	s_delay_alu instid0(VALU_DEP_4) | instskip(SKIP_2) | instid1(VALU_DEP_2)
	v_add_f32_e32 v18, v4, v5
	v_cndmask_b32_e32 v0, 0x7f800000, v20, vcc_lo
	v_cmp_nlt_f32_e32 vcc_lo, 0x42b17218, v19
	v_dual_add_f32 v18, v0, v18 :: v_dual_cndmask_b32 v1, 0x7f800000, v1
	s_delay_alu instid0(VALU_DEP_1)
	v_add_f32_e32 v18, v1, v18
	ds_bpermute_b32 v11, v11, v18
	s_wait_dscnt 0x0
	v_add_f32_e32 v11, v18, v11
	ds_bpermute_b32 v12, v12, v11
	s_wait_dscnt 0x0
	;; [unrolled: 3-line block ×5, first 2 shown]
	v_add_f32_e32 v11, v11, v12
	s_delay_alu instid0(VALU_DEP_1) | instskip(SKIP_1) | instid1(VALU_DEP_2)
	v_div_scale_f32 v12, null, v11, v11, 1.0
	v_div_scale_f32 v17, vcc_lo, 1.0, v11, 1.0
	v_rcp_f32_e32 v13, v12
	v_nop
	s_delay_alu instid0(TRANS32_DEP_1) | instskip(NEXT) | instid1(VALU_DEP_1)
	v_fma_f32 v16, -v12, v13, 1.0
	v_fmac_f32_e32 v13, v16, v13
	s_delay_alu instid0(VALU_DEP_1) | instskip(NEXT) | instid1(VALU_DEP_1)
	v_mul_f32_e32 v16, v17, v13
	v_fma_f32 v18, -v12, v16, v17
	s_delay_alu instid0(VALU_DEP_1) | instskip(NEXT) | instid1(VALU_DEP_1)
	v_fmac_f32_e32 v16, v18, v13
	v_fma_f32 v12, -v12, v16, v17
	s_delay_alu instid0(VALU_DEP_1) | instskip(NEXT) | instid1(VALU_DEP_1)
	v_div_fmas_f32 v12, v12, v13, v16
	v_div_fixup_f32 v12, v12, v11, 1.0
	s_delay_alu instid0(VALU_DEP_1)
	v_pk_mul_f32 v[0:1], v[0:1], v[12:13] op_sel_hi:[1,0]
	v_pk_mul_f32 v[4:5], v[4:5], v[12:13] op_sel_hi:[1,0]
	s_and_not1_b32 vcc_lo, exec_lo, s1
	s_cbranch_vccz .LBB18_5
	s_branch .LBB18_6
.LBB18_4:
                                        ; implicit-def: $vgpr1
                                        ; implicit-def: $vgpr5
.LBB18_5:
	s_wait_loadcnt 0x2
	v_dual_mul_f32 v0, 0xbfb8aa3b, v9 :: v_dual_mul_f32 v1, 0xbfb8aa3b, v8
	s_wait_loadcnt 0x0
	v_dual_mul_f32 v4, 0xbfb8aa3b, v7 :: v_dual_mul_f32 v5, 0xbfb8aa3b, v6
	v_cmp_nlt_f32_e32 vcc_lo, 0x42ce8ed0, v9
	s_delay_alu instid0(VALU_DEP_3)
	v_rndne_f32_e32 v11, v0
	v_fma_f32 v12, 0xbfb8aa3b, v9, -v0
	v_rndne_f32_e32 v13, v1
	v_fma_f32 v16, 0xbfb8aa3b, v8, -v1
	v_rndne_f32_e32 v19, v5
	v_sub_f32_e32 v0, v0, v11
	v_cvt_i32_f32_e32 v11, v11
	s_delay_alu instid0(VALU_DEP_4)
	v_dual_sub_f32 v1, v1, v13 :: v_dual_fmac_f32 v16, 0xb2a5705f, v8
	v_fmac_f32_e32 v12, 0xb2a5705f, v9
	v_rndne_f32_e32 v17, v4
	v_cvt_i32_f32_e32 v13, v13
	v_fma_f32 v18, 0xbfb8aa3b, v7, -v4
	v_add_f32_e32 v1, v1, v16
	v_add_f32_e32 v0, v0, v12
	v_fma_f32 v12, 0xbfb8aa3b, v6, -v5
	v_sub_f32_e32 v5, v5, v19
	s_delay_alu instid0(VALU_DEP_4) | instskip(NEXT) | instid1(VALU_DEP_2)
	v_exp_f32_e32 v1, v1
	v_fmac_f32_e32 v12, 0xb2a5705f, v6
	s_delay_alu instid0(VALU_DEP_1) | instskip(SKIP_1) | instid1(TRANS32_DEP_2)
	v_add_f32_e32 v5, v5, v12
	v_exp_f32_e32 v0, v0
	v_ldexp_f32 v1, v1, v13
	s_delay_alu instid0(VALU_DEP_2) | instskip(NEXT) | instid1(TRANS32_DEP_2)
	v_exp_f32_e32 v5, v5
	v_ldexp_f32 v0, v0, v11
	v_sub_f32_e32 v4, v4, v17
	v_cvt_i32_f32_e32 v11, v17
	s_delay_alu instid0(VALU_DEP_3)
	v_cndmask_b32_e32 v0, 0, v0, vcc_lo
	v_cmp_nlt_f32_e32 vcc_lo, 0x42ce8ed0, v8
	v_dual_fmac_f32 v18, 0xb2a5705f, v7 :: v_dual_cndmask_b32 v1, 0, v1
	v_cmp_ngt_f32_e32 vcc_lo, 0xc2b17218, v9
	v_cvt_i32_f32_e32 v9, v19
	v_cndmask_b32_e32 v0, 0x7f800000, v0, vcc_lo
	v_cmp_ngt_f32_e32 vcc_lo, 0xc2b17218, v8
	v_add_f32_e32 v4, v4, v18
	s_delay_alu instid0(VALU_DEP_4) | instskip(SKIP_1) | instid1(VALU_DEP_3)
	v_ldexp_f32 v5, v5, v9
	v_cndmask_b32_e32 v1, 0x7f800000, v1, vcc_lo
	v_exp_f32_e32 v4, v4
	v_cmp_nlt_f32_e32 vcc_lo, 0x42ce8ed0, v7
	s_delay_alu instid0(VALU_DEP_2) | instskip(NEXT) | instid1(TRANS32_DEP_1)
	v_pk_add_f32 v[0:1], v[0:1], 1.0 op_sel_hi:[1,0]
	v_ldexp_f32 v4, v4, v11
	s_delay_alu instid0(VALU_DEP_2) | instskip(NEXT) | instid1(VALU_DEP_1)
	v_div_scale_f32 v8, null, v0, v0, 1.0
	v_rcp_f32_e32 v9, v8
	v_nop
	s_delay_alu instid0(TRANS32_DEP_1) | instskip(NEXT) | instid1(VALU_DEP_1)
	v_fma_f32 v11, -v8, v9, 1.0
	v_dual_fmac_f32 v9, v11, v9 :: v_dual_cndmask_b32 v4, 0, v4
	v_cmp_nlt_f32_e32 vcc_lo, 0x42ce8ed0, v6
	v_cndmask_b32_e32 v5, 0, v5, vcc_lo
	v_cmp_ngt_f32_e32 vcc_lo, 0xc2b17218, v7
	s_delay_alu instid0(VALU_DEP_4) | instskip(SKIP_1) | instid1(VALU_DEP_4)
	v_cndmask_b32_e32 v4, 0x7f800000, v4, vcc_lo
	v_cmp_ngt_f32_e32 vcc_lo, 0xc2b17218, v6
	v_cndmask_b32_e32 v5, 0x7f800000, v5, vcc_lo
	v_div_scale_f32 v11, vcc_lo, 1.0, v0, 1.0
	s_delay_alu instid0(VALU_DEP_2) | instskip(SKIP_1) | instid1(VALU_DEP_3)
	v_pk_add_f32 v[6:7], v[4:5], 1.0 op_sel_hi:[1,0]
	v_div_scale_f32 v4, null, v1, v1, 1.0
	v_mul_f32_e32 v18, v11, v9
	s_delay_alu instid0(VALU_DEP_3) | instskip(NEXT) | instid1(VALU_DEP_3)
	v_div_scale_f32 v5, null, v6, v6, 1.0
	v_rcp_f32_e32 v12, v4
	v_div_scale_f32 v16, null, v7, v7, 1.0
	s_delay_alu instid0(VALU_DEP_2) | instskip(NEXT) | instid1(VALU_DEP_1)
	v_rcp_f32_e32 v13, v5
	v_rcp_f32_e32 v20, v16
	s_delay_alu instid0(TRANS32_DEP_3) | instskip(NEXT) | instid1(TRANS32_DEP_2)
	v_fma_f32 v17, -v4, v12, 1.0
	v_fma_f32 v19, -v5, v13, 1.0
	s_delay_alu instid0(VALU_DEP_2) | instskip(SKIP_1) | instid1(VALU_DEP_3)
	v_fmac_f32_e32 v12, v17, v12
	v_div_scale_f32 v17, s1, 1.0, v1, 1.0
	v_fmac_f32_e32 v13, v19, v13
	v_div_scale_f32 v19, s2, 1.0, v6, 1.0
	v_fma_f32 v21, -v16, v20, 1.0
	s_delay_alu instid0(VALU_DEP_4) | instskip(NEXT) | instid1(VALU_DEP_2)
	v_dual_fma_f32 v22, -v8, v18, v11 :: v_dual_mul_f32 v23, v17, v12
	v_dual_mul_f32 v24, v19, v13 :: v_dual_fmac_f32 v20, v21, v20
	v_div_scale_f32 v21, s3, 1.0, v7, 1.0
	s_delay_alu instid0(VALU_DEP_3) | instskip(NEXT) | instid1(VALU_DEP_1)
	v_dual_fmac_f32 v18, v22, v9 :: v_dual_fma_f32 v22, -v4, v23, v17
	v_dual_mul_f32 v26, v21, v20 :: v_dual_fma_f32 v8, -v8, v18, v11
	s_delay_alu instid0(VALU_DEP_1) | instskip(NEXT) | instid1(VALU_DEP_3)
	v_dual_fma_f32 v25, -v5, v24, v19 :: v_dual_fma_f32 v11, -v16, v26, v21
	v_fmac_f32_e32 v23, v22, v12
	s_delay_alu instid0(VALU_DEP_3) | instskip(NEXT) | instid1(VALU_DEP_3)
	v_div_fmas_f32 v8, v8, v9, v18
	v_fmac_f32_e32 v24, v25, v13
	s_mov_b32 vcc_lo, s1
	s_delay_alu instid0(VALU_DEP_3) | instskip(NEXT) | instid1(VALU_DEP_2)
	v_dual_fmac_f32 v26, v11, v20 :: v_dual_fma_f32 v4, -v4, v23, v17
	v_fma_f32 v5, -v5, v24, v19
	s_delay_alu instid0(VALU_DEP_2) | instskip(NEXT) | instid1(VALU_DEP_3)
	v_div_fmas_f32 v9, v4, v12, v23
	v_fma_f32 v4, -v16, v26, v21
	s_mov_b32 vcc_lo, s2
	s_delay_alu instid0(VALU_DEP_3)
	v_div_fmas_f32 v11, v5, v13, v24
	s_mov_b32 vcc_lo, s3
	v_div_fixup_f32 v5, v9, v1, 1.0
	v_div_fmas_f32 v12, v4, v20, v26
	v_div_fixup_f32 v4, v8, v0, 1.0
	v_div_fixup_f32 v0, v11, v6, 1.0
	s_delay_alu instid0(VALU_DEP_3)
	v_div_fixup_f32 v1, v12, v7, 1.0
.LBB18_6:
	s_wait_loadcnt 0x2
	s_delay_alu instid0(VALU_DEP_1) | instskip(SKIP_1) | instid1(VALU_DEP_2)
	v_dual_mov_b32 v9, v4 :: v_dual_mov_b32 v8, v5
	s_wait_loadcnt 0x0
	v_dual_mov_b32 v7, v0 :: v_dual_mov_b32 v6, v1
.LBB18_7:
	s_lshr_b32 s1, s4, 8
	s_cmp_gt_i32 s5, 0
	s_mov_b32 s2, 0
	s_cbranch_scc1 .LBB18_9
; %bb.8:
	s_bitcmp1_b32 s1, 0
	s_cselect_b32 s8, -1, 0
	s_branch .LBB18_10
.LBB18_9:
	s_mov_b32 s2, -1
                                        ; implicit-def: $sgpr8
.LBB18_10:
	v_dual_add_nc_u32 v18, 32, v15 :: v_dual_add_nc_u32 v17, 64, v15
	v_add_nc_u32_e32 v16, 0x60, v15
	v_mbcnt_lo_u32_b32 v11, -1, 0
	s_and_not1_b32 vcc_lo, exec_lo, s2
	s_mov_b32 s4, 0
	s_cbranch_vccnz .LBB18_37
; %bb.11:
	s_wait_loadcnt 0x3
	v_cmp_o_f32_e32 vcc_lo, v9, v9
	v_xor_b32_e32 v1, 8, v11
	v_xor_b32_e32 v0, 16, v11
	v_lshl_add_u64 v[12:13], v[2:3], 2, s[12:13]
	s_bitcmp1_b32 s1, 0
	s_wait_xcnt 0x0
	v_cndmask_b32_e32 v4, 0xff7fffff, v9, vcc_lo
	s_wait_loadcnt 0x2
	v_cmp_o_f32_e32 vcc_lo, v8, v8
	s_cselect_b32 s8, -1, 0
	v_cndmask_b32_e32 v5, 0xff7fffff, v8, vcc_lo
	s_wait_loadcnt 0x1
	v_cmp_o_f32_e32 vcc_lo, v7, v7
	v_cndmask_b32_e32 v8, 0xff7fffff, v7, vcc_lo
	s_wait_loadcnt 0x0
	v_cmp_o_f32_e32 vcc_lo, v6, v6
	v_cndmask_b32_e32 v7, 0xff7fffff, v6, vcc_lo
	v_cmp_gt_i32_e32 vcc_lo, 32, v0
	v_dual_cndmask_b32 v0, v11, v0, vcc_lo :: v_dual_bitop2_b32 v6, 1, v11 bitop3:0x14
	v_cmp_gt_i32_e32 vcc_lo, 32, v1
	s_delay_alu instid0(VALU_DEP_2) | instskip(SKIP_1) | instid1(VALU_DEP_1)
	v_dual_mov_b32 v0, 0 :: v_dual_lshlrev_b32 v9, 2, v0
	v_dual_cndmask_b32 v1, v11, v1, vcc_lo :: v_dual_bitop2_b32 v2, 4, v11 bitop3:0x14
	v_cmp_gt_i32_e32 vcc_lo, 32, v2
	s_delay_alu instid0(VALU_DEP_2) | instskip(SKIP_1) | instid1(VALU_DEP_2)
	v_dual_lshlrev_b32 v19, 2, v1 :: v_dual_bitop2_b32 v3, 2, v11 bitop3:0x14
	v_dual_mov_b32 v1, 0 :: v_dual_cndmask_b32 v2, v11, v2
	v_cmp_gt_i32_e32 vcc_lo, 32, v3
	s_delay_alu instid0(VALU_DEP_2) | instskip(SKIP_2) | instid1(VALU_DEP_1)
	v_dual_cndmask_b32 v3, v11, v3 :: v_dual_lshlrev_b32 v20, 2, v2
	v_cmp_gt_i32_e32 vcc_lo, 32, v6
	v_dual_mov_b32 v2, 0 :: v_dual_cndmask_b32 v6, v11, v6, vcc_lo
	v_dual_lshlrev_b32 v22, 2, v6 :: v_dual_mov_b32 v6, 0
	s_delay_alu instid0(VALU_DEP_4)
	v_dual_lshlrev_b32 v21, 2, v3 :: v_dual_mov_b32 v3, 0
	s_branch .LBB18_13
.LBB18_12:                              ;   in Loop: Header=BB18_13 Depth=1
	s_wait_xcnt 0x0
	s_or_b32 exec_lo, exec_lo, s1
	s_lshr_b32 s3, s4, 5
	s_and_b32 s9, s4, 31
	s_cmp_eq_u32 s3, 0
	v_add_nc_u64_e32 v[12:13], 4, v[12:13]
	s_cselect_b32 vcc_lo, -1, 0
	s_cmp_eq_u32 s3, 1
	s_cselect_b32 s1, -1, 0
	s_cmp_eq_u32 s3, 2
	s_wait_dscnt 0x0
	v_cndmask_b32_e64 v26, v1, v23, s1
	s_cselect_b32 s2, -1, 0
	s_cmp_eq_u32 s3, 3
	v_cndmask_b32_e64 v25, v2, v23, s2
	s_cselect_b32 s3, -1, 0
	s_add_co_i32 s4, s4, 1
	v_cndmask_b32_e64 v24, v3, v23, s3
	v_cmp_eq_u32_e64 s3, s9, v15
	v_cndmask_b32_e32 v23, v0, v23, vcc_lo
	s_cmp_eq_u32 s5, s4
	v_dual_cndmask_b32 v3, v3, v24, s3 :: v_dual_cndmask_b32 v2, v2, v25, s3
	s_delay_alu instid0(VALU_DEP_2)
	v_dual_cndmask_b32 v1, v1, v26, s3 :: v_dual_cndmask_b32 v0, v0, v23, s3
	s_cbranch_scc1 .LBB18_38
.LBB18_13:                              ; =>This Inner Loop Header: Depth=1
	v_cmp_gt_f32_e32 vcc_lo, v5, v4
	s_mov_b32 s3, exec_lo
	v_dual_cndmask_b32 v23, v4, v5 :: v_dual_cndmask_b32 v24, v15, v18
	s_delay_alu instid0(VALU_DEP_1) | instskip(NEXT) | instid1(VALU_DEP_1)
	v_cmp_gt_f32_e64 s1, v8, v23
	v_dual_cndmask_b32 v23, v23, v8, s1 :: v_dual_cndmask_b32 v24, v24, v17, s1
	s_delay_alu instid0(VALU_DEP_1) | instskip(NEXT) | instid1(VALU_DEP_2)
	v_cmp_gt_f32_e32 vcc_lo, v7, v23
	v_dual_cndmask_b32 v23, v23, v7 :: v_dual_cndmask_b32 v24, v24, v16
	ds_bpermute_b32 v25, v9, v23
	ds_bpermute_b32 v26, v9, v24
	s_wait_dscnt 0x1
	v_cmp_lt_f32_e64 s2, v23, v25
	v_cmpx_nlt_f32_e32 v23, v25
	s_cbranch_execz .LBB18_15
; %bb.14:                               ;   in Loop: Header=BB18_13 Depth=1
	v_cmp_eq_f32_e32 vcc_lo, v23, v25
	s_wait_dscnt 0x0
	v_cmp_lt_i32_e64 s1, v26, v24
	s_and_not1_b32 s2, s2, exec_lo
	s_and_b32 s1, vcc_lo, s1
	s_delay_alu instid0(SALU_CYCLE_1) | instskip(NEXT) | instid1(SALU_CYCLE_1)
	s_and_b32 s1, s1, exec_lo
	s_or_b32 s2, s2, s1
.LBB18_15:                              ;   in Loop: Header=BB18_13 Depth=1
	s_or_b32 exec_lo, exec_lo, s3
	s_and_saveexec_b32 s1, s2
	s_cbranch_execz .LBB18_17
; %bb.16:                               ;   in Loop: Header=BB18_13 Depth=1
	s_wait_dscnt 0x0
	v_dual_mov_b32 v23, v25 :: v_dual_mov_b32 v24, v26
.LBB18_17:                              ;   in Loop: Header=BB18_13 Depth=1
	s_or_b32 exec_lo, exec_lo, s1
	s_wait_dscnt 0x0
	ds_bpermute_b32 v26, v19, v23
	ds_bpermute_b32 v25, v19, v24
	s_mov_b32 s3, exec_lo
	s_wait_dscnt 0x1
	v_cmp_lt_f32_e64 s2, v23, v26
	v_cmpx_nlt_f32_e32 v23, v26
	s_cbranch_execz .LBB18_19
; %bb.18:                               ;   in Loop: Header=BB18_13 Depth=1
	v_cmp_eq_f32_e32 vcc_lo, v23, v26
	s_wait_dscnt 0x0
	v_cmp_lt_i32_e64 s1, v25, v24
	s_and_not1_b32 s2, s2, exec_lo
	s_and_b32 s1, vcc_lo, s1
	s_delay_alu instid0(SALU_CYCLE_1) | instskip(NEXT) | instid1(SALU_CYCLE_1)
	s_and_b32 s1, s1, exec_lo
	s_or_b32 s2, s2, s1
.LBB18_19:                              ;   in Loop: Header=BB18_13 Depth=1
	s_or_b32 exec_lo, exec_lo, s3
	s_and_saveexec_b32 s1, s2
	s_cbranch_execz .LBB18_21
; %bb.20:                               ;   in Loop: Header=BB18_13 Depth=1
	s_wait_dscnt 0x0
	v_dual_mov_b32 v23, v26 :: v_dual_mov_b32 v24, v25
.LBB18_21:                              ;   in Loop: Header=BB18_13 Depth=1
	s_or_b32 exec_lo, exec_lo, s1
	ds_bpermute_b32 v26, v20, v23
	s_wait_dscnt 0x1
	ds_bpermute_b32 v25, v20, v24
	s_mov_b32 s3, exec_lo
	s_wait_dscnt 0x1
	v_cmp_lt_f32_e64 s2, v23, v26
	v_cmpx_nlt_f32_e32 v23, v26
	s_cbranch_execz .LBB18_23
; %bb.22:                               ;   in Loop: Header=BB18_13 Depth=1
	v_cmp_eq_f32_e32 vcc_lo, v23, v26
	s_wait_dscnt 0x0
	v_cmp_lt_i32_e64 s1, v25, v24
	s_and_not1_b32 s2, s2, exec_lo
	s_and_b32 s1, vcc_lo, s1
	s_delay_alu instid0(SALU_CYCLE_1) | instskip(NEXT) | instid1(SALU_CYCLE_1)
	s_and_b32 s1, s1, exec_lo
	s_or_b32 s2, s2, s1
.LBB18_23:                              ;   in Loop: Header=BB18_13 Depth=1
	s_or_b32 exec_lo, exec_lo, s3
	s_and_saveexec_b32 s1, s2
	s_cbranch_execz .LBB18_25
; %bb.24:                               ;   in Loop: Header=BB18_13 Depth=1
	s_wait_dscnt 0x0
	v_dual_mov_b32 v23, v26 :: v_dual_mov_b32 v24, v25
.LBB18_25:                              ;   in Loop: Header=BB18_13 Depth=1
	s_or_b32 exec_lo, exec_lo, s1
	ds_bpermute_b32 v26, v21, v23
	s_wait_dscnt 0x1
	ds_bpermute_b32 v25, v21, v24
	s_mov_b32 s3, exec_lo
	s_wait_dscnt 0x1
	v_cmp_lt_f32_e64 s2, v23, v26
	v_cmpx_nlt_f32_e32 v23, v26
	s_cbranch_execz .LBB18_27
; %bb.26:                               ;   in Loop: Header=BB18_13 Depth=1
	v_cmp_eq_f32_e32 vcc_lo, v23, v26
	s_wait_dscnt 0x0
	v_cmp_lt_i32_e64 s1, v25, v24
	s_and_not1_b32 s2, s2, exec_lo
	s_and_b32 s1, vcc_lo, s1
	s_delay_alu instid0(SALU_CYCLE_1) | instskip(NEXT) | instid1(SALU_CYCLE_1)
	s_and_b32 s1, s1, exec_lo
	s_or_b32 s2, s2, s1
.LBB18_27:                              ;   in Loop: Header=BB18_13 Depth=1
	s_or_b32 exec_lo, exec_lo, s3
	s_and_saveexec_b32 s1, s2
	s_cbranch_execz .LBB18_29
; %bb.28:                               ;   in Loop: Header=BB18_13 Depth=1
	s_wait_dscnt 0x0
	v_dual_mov_b32 v23, v26 :: v_dual_mov_b32 v24, v25
.LBB18_29:                              ;   in Loop: Header=BB18_13 Depth=1
	s_or_b32 exec_lo, exec_lo, s1
	s_wait_dscnt 0x0
	ds_bpermute_b32 v25, v22, v23
	ds_bpermute_b32 v26, v22, v24
	s_mov_b32 s3, exec_lo
	s_wait_dscnt 0x1
	v_cmp_lt_f32_e64 s2, v23, v25
	v_cmpx_nlt_f32_e32 v23, v25
	s_cbranch_execz .LBB18_31
; %bb.30:                               ;   in Loop: Header=BB18_13 Depth=1
	v_cmp_eq_f32_e32 vcc_lo, v23, v25
	s_wait_dscnt 0x0
	v_cmp_lt_i32_e64 s1, v26, v24
	s_and_not1_b32 s2, s2, exec_lo
	s_and_b32 s1, vcc_lo, s1
	s_delay_alu instid0(SALU_CYCLE_1) | instskip(NEXT) | instid1(SALU_CYCLE_1)
	s_and_b32 s1, s1, exec_lo
	s_or_b32 s2, s2, s1
.LBB18_31:                              ;   in Loop: Header=BB18_13 Depth=1
	s_or_b32 exec_lo, exec_lo, s3
	s_and_saveexec_b32 s1, s2
	s_cbranch_execz .LBB18_33
; %bb.32:                               ;   in Loop: Header=BB18_13 Depth=1
	s_wait_dscnt 0x0
	v_dual_mov_b32 v23, v25 :: v_dual_mov_b32 v24, v26
.LBB18_33:                              ;   in Loop: Header=BB18_13 Depth=1
	s_or_b32 exec_lo, exec_lo, s1
	s_delay_alu instid0(VALU_DEP_1) | instskip(NEXT) | instid1(VALU_DEP_1)
	v_and_b32_e32 v25, 31, v24
	v_cmp_eq_u32_e32 vcc_lo, v25, v15
	s_and_saveexec_b32 s2, vcc_lo
	s_cbranch_execz .LBB18_35
; %bb.34:                               ;   in Loop: Header=BB18_13 Depth=1
	v_ashrrev_i32_e32 v25, 31, v24
	s_delay_alu instid0(VALU_DEP_1) | instskip(NEXT) | instid1(VALU_DEP_1)
	v_lshrrev_b32_e32 v25, 27, v25
	v_add_nc_u32_e32 v25, v24, v25
	s_delay_alu instid0(VALU_DEP_1) | instskip(NEXT) | instid1(VALU_DEP_1)
	v_ashrrev_i32_e32 v25, 5, v25
	v_cmp_ne_u32_e64 s1, 3, v25
	s_delay_alu instid0(VALU_DEP_1) | instskip(SKIP_1) | instid1(VALU_DEP_1)
	v_cndmask_b32_e64 v7, 0xff800000, v7, s1
	v_cmp_ne_u32_e64 s1, 2, v25
	v_cndmask_b32_e64 v8, 0xff800000, v8, s1
	v_cmp_ne_u32_e64 s1, 1, v25
	s_delay_alu instid0(VALU_DEP_1) | instskip(SKIP_1) | instid1(VALU_DEP_1)
	v_cndmask_b32_e64 v5, 0xff800000, v5, s1
	v_cmp_ne_u32_e64 s1, 0, v25
	v_cndmask_b32_e64 v4, 0xff800000, v4, s1
.LBB18_35:                              ;   in Loop: Header=BB18_13 Depth=1
	s_or_b32 exec_lo, exec_lo, s2
	s_and_saveexec_b32 s1, vcc_lo
	s_cbranch_execz .LBB18_12
; %bb.36:                               ;   in Loop: Header=BB18_13 Depth=1
	v_add_f32_e32 v25, v6, v23
	global_store_b32 v[12:13], v24, off
	v_cndmask_b32_e64 v6, v6, v25, s8
	s_branch .LBB18_12
.LBB18_37:
	s_wait_loadcnt 0x0
	v_mov_b32_e32 v6, 0
	s_delay_alu instid0(VALU_DEP_1) | instskip(SKIP_1) | instid1(VALU_DEP_2)
	v_dual_mov_b32 v7, v6 :: v_dual_mov_b32 v8, v6
	v_mov_b32_e32 v9, v6
	v_mov_b64_e32 v[0:1], v[6:7]
	s_delay_alu instid0(VALU_DEP_2)
	v_mov_b64_e32 v[2:3], v[8:9]
.LBB18_38:
	s_and_b32 vcc_lo, exec_lo, s8
	s_cbranch_vccz .LBB18_40
; %bb.39:
	v_xor_b32_e32 v5, 8, v11
	v_xor_b32_e32 v4, 16, v11
	s_delay_alu instid0(VALU_DEP_1) | instskip(SKIP_1) | instid1(VALU_DEP_4)
	v_cmp_gt_i32_e32 vcc_lo, 32, v4
	v_cndmask_b32_e32 v4, v11, v4, vcc_lo
	v_cmp_gt_i32_e32 vcc_lo, 32, v5
	v_cndmask_b32_e32 v5, v11, v5, vcc_lo
	s_delay_alu instid0(VALU_DEP_1)
	v_dual_lshlrev_b32 v5, 2, v5 :: v_dual_lshlrev_b32 v4, 2, v4
	ds_bpermute_b32 v4, v4, v6
	s_wait_dscnt 0x0
	v_dual_add_f32 v4, v6, v4 :: v_dual_bitop2_b32 v6, 4, v11 bitop3:0x14
	ds_bpermute_b32 v5, v5, v4
	v_cmp_gt_i32_e32 vcc_lo, 32, v6
	s_wait_dscnt 0x0
	v_dual_cndmask_b32 v6, v11, v6, vcc_lo :: v_dual_add_f32 v4, v4, v5
	s_delay_alu instid0(VALU_DEP_1) | instskip(SKIP_3) | instid1(VALU_DEP_1)
	v_lshlrev_b32_e32 v6, 2, v6
	ds_bpermute_b32 v5, v6, v4
	s_wait_dscnt 0x0
	v_dual_add_f32 v4, v4, v5 :: v_dual_bitop2_b32 v6, 2, v11 bitop3:0x14
	v_cmp_gt_i32_e32 vcc_lo, 32, v6
	v_cndmask_b32_e32 v6, v11, v6, vcc_lo
	s_delay_alu instid0(VALU_DEP_1) | instskip(SKIP_2) | instid1(VALU_DEP_1)
	v_lshlrev_b32_e32 v6, 2, v6
	ds_bpermute_b32 v5, v6, v4
	v_xor_b32_e32 v6, 1, v11
	v_cmp_gt_i32_e32 vcc_lo, 32, v6
	v_cndmask_b32_e32 v6, v11, v6, vcc_lo
	s_wait_dscnt 0x0
	s_delay_alu instid0(VALU_DEP_1) | instskip(SKIP_4) | instid1(VALU_DEP_1)
	v_dual_lshlrev_b32 v6, 2, v6 :: v_dual_add_f32 v4, v4, v5
	ds_bpermute_b32 v5, v6, v4
	v_max_num_f32_e64 v6, s6, s6
	s_wait_dscnt 0x0
	v_add_f32_e32 v4, v4, v5
	v_max_num_f32_e32 v4, v4, v6
	s_delay_alu instid0(VALU_DEP_1) | instskip(NEXT) | instid1(VALU_DEP_1)
	v_div_scale_f32 v5, null, v4, v4, 1.0
	v_rcp_f32_e32 v6, v5
	v_nop
	s_delay_alu instid0(TRANS32_DEP_1) | instskip(NEXT) | instid1(VALU_DEP_1)
	v_fma_f32 v7, -v5, v6, 1.0
	v_fmac_f32_e32 v6, v7, v6
	v_div_scale_f32 v8, vcc_lo, 1.0, v4, 1.0
	s_delay_alu instid0(VALU_DEP_1) | instskip(NEXT) | instid1(VALU_DEP_1)
	v_mul_f32_e32 v7, v8, v6
	v_fma_f32 v9, -v5, v7, v8
	s_delay_alu instid0(VALU_DEP_1) | instskip(NEXT) | instid1(VALU_DEP_1)
	v_fmac_f32_e32 v7, v9, v6
	v_fma_f32 v5, -v5, v7, v8
	s_delay_alu instid0(VALU_DEP_1) | instskip(NEXT) | instid1(VALU_DEP_1)
	v_div_fmas_f32 v5, v5, v6, v7
	v_div_fixup_f32 v4, v5, v4, 1.0
	s_delay_alu instid0(VALU_DEP_1)
	v_pk_mul_f32 v[2:3], v[4:5], v[2:3] op_sel_hi:[0,1]
	v_pk_mul_f32 v[0:1], v[4:5], v[0:1] op_sel_hi:[0,1]
.LBB18_40:
	v_cmp_gt_i32_e64 s1, s5, v18
	v_cmp_gt_i32_e64 s2, s5, v17
	;; [unrolled: 1-line block ×4, first 2 shown]
	s_and_not1_b32 vcc_lo, exec_lo, s0
	s_cbranch_vccnz .LBB18_42
; %bb.41:
	v_dual_max_num_f32 v4, v0, v0 :: v_dual_max_num_f32 v5, v1, v1
	v_xor_b32_e32 v8, 4, v11
	s_mov_b32 s0, 0
	s_delay_alu instid0(VALU_DEP_2) | instskip(SKIP_1) | instid1(VALU_DEP_2)
	v_dual_max_num_f32 v7, v3, v3 :: v_dual_max_num_f32 v4, 0xff800000, v4
	v_dual_max_num_f32 v6, v2, v2 :: v_dual_bitop2_b32 v12, 1, v11 bitop3:0x14
	v_cndmask_b32_e64 v4, 0xff800000, v4, s4
	s_delay_alu instid0(VALU_DEP_1) | instskip(NEXT) | instid1(VALU_DEP_1)
	v_max_num_f32_e32 v5, v4, v5
	v_cndmask_b32_e64 v4, v4, v5, s1
	s_delay_alu instid0(VALU_DEP_1) | instskip(NEXT) | instid1(VALU_DEP_1)
	v_dual_max_num_f32 v5, v4, v6 :: v_dual_bitop2_b32 v6, 16, v11 bitop3:0x14
	v_cmp_gt_i32_e32 vcc_lo, 32, v6
	s_delay_alu instid0(VALU_DEP_2) | instskip(NEXT) | instid1(VALU_DEP_1)
	v_dual_cndmask_b32 v4, v4, v5, s2 :: v_dual_cndmask_b32 v5, v11, v6, vcc_lo
	v_dual_max_num_f32 v6, v4, v7 :: v_dual_lshlrev_b32 v5, 2, v5
	s_delay_alu instid0(VALU_DEP_1) | instskip(SKIP_3) | instid1(VALU_DEP_1)
	v_cndmask_b32_e64 v4, v4, v6, s3
	ds_bpermute_b32 v6, v5, v4
	s_wait_dscnt 0x0
	v_dual_max_num_f32 v6, v6, v6 :: v_dual_bitop2_b32 v7, 8, v11 bitop3:0x14
	v_cmp_gt_i32_e32 vcc_lo, 32, v7
	s_delay_alu instid0(VALU_DEP_2) | instskip(SKIP_1) | instid1(VALU_DEP_2)
	v_dual_max_num_f32 v4, v4, v6 :: v_dual_cndmask_b32 v7, v11, v7
	v_cmp_gt_i32_e32 vcc_lo, 32, v8
	v_dual_cndmask_b32 v8, v11, v8 :: v_dual_lshlrev_b32 v7, 2, v7
	ds_bpermute_b32 v6, v7, v4
	s_wait_dscnt 0x0
	v_dual_max_num_f32 v6, v6, v6 :: v_dual_lshlrev_b32 v8, 2, v8
	s_delay_alu instid0(VALU_DEP_1) | instskip(SKIP_3) | instid1(VALU_DEP_1)
	v_max_num_f32_e32 v4, v4, v6
	ds_bpermute_b32 v6, v8, v4
	s_wait_dscnt 0x0
	v_dual_max_num_f32 v6, v6, v6 :: v_dual_bitop2_b32 v9, 2, v11 bitop3:0x14
	v_cmp_gt_i32_e32 vcc_lo, 32, v9
	s_delay_alu instid0(VALU_DEP_2) | instskip(SKIP_1) | instid1(VALU_DEP_2)
	v_dual_max_num_f32 v4, v4, v6 :: v_dual_cndmask_b32 v9, v11, v9
	v_cmp_gt_i32_e32 vcc_lo, 32, v12
	v_lshlrev_b32_e32 v9, 2, v9
	ds_bpermute_b32 v6, v9, v4
	s_wait_dscnt 0x0
	v_dual_cndmask_b32 v11, v11, v12 :: v_dual_max_num_f32 v6, v6, v6
	s_delay_alu instid0(VALU_DEP_1) | instskip(SKIP_3) | instid1(VALU_DEP_1)
	v_dual_max_num_f32 v4, v4, v6 :: v_dual_lshlrev_b32 v11, 2, v11
	ds_bpermute_b32 v6, v11, v4
	s_wait_dscnt 0x0
	v_max_num_f32_e32 v6, v6, v6
	v_max_num_f32_e32 v4, v4, v6
	s_delay_alu instid0(VALU_DEP_1) | instskip(NEXT) | instid1(VALU_DEP_1)
	v_sub_f32_e32 v3, v3, v4
	v_dual_mul_f32 v13, 0x3fb8aa3b, v3 :: v_dual_sub_f32 v0, v0, v4
	v_dual_sub_f32 v1, v1, v4 :: v_dual_sub_f32 v2, v2, v4
	s_delay_alu instid0(VALU_DEP_2) | instskip(NEXT) | instid1(VALU_DEP_2)
	v_mul_f32_e32 v4, 0x3fb8aa3b, v0
	v_mul_f32_e32 v6, 0x3fb8aa3b, v1
	s_delay_alu instid0(VALU_DEP_4) | instskip(SKIP_1) | instid1(VALU_DEP_4)
	v_fma_f32 v25, 0x3fb8aa3b, v3, -v13
	v_cmp_ngt_f32_e32 vcc_lo, 0xc2ce8ed0, v0
	v_fma_f32 v19, 0x3fb8aa3b, v0, -v4
	v_rndne_f32_e32 v20, v4
	v_fma_f32 v21, 0x3fb8aa3b, v1, -v6
	v_rndne_f32_e32 v22, v6
	v_fmac_f32_e32 v25, 0x32a5705f, v3
	v_fmac_f32_e32 v19, 0x32a5705f, v0
	s_delay_alu instid0(VALU_DEP_4) | instskip(NEXT) | instid1(VALU_DEP_4)
	v_dual_sub_f32 v4, v4, v20 :: v_dual_fmac_f32 v21, 0x32a5705f, v1
	v_sub_f32_e32 v6, v6, v22
	v_cvt_i32_f32_e32 v20, v20
	s_delay_alu instid0(VALU_DEP_3) | instskip(SKIP_1) | instid1(VALU_DEP_1)
	v_add_f32_e32 v4, v4, v19
	v_rndne_f32_e32 v19, v13
	v_dual_sub_f32 v13, v13, v19 :: v_dual_mul_f32 v12, 0x3fb8aa3b, v2
	s_delay_alu instid0(VALU_DEP_1) | instskip(NEXT) | instid1(VALU_DEP_2)
	v_add_f32_e32 v13, v13, v25
	v_fma_f32 v23, 0x3fb8aa3b, v2, -v12
	v_rndne_f32_e32 v24, v12
	v_add_f32_e32 v6, v6, v21
	v_cvt_i32_f32_e32 v21, v22
	s_delay_alu instid0(VALU_DEP_4) | instskip(SKIP_4) | instid1(TRANS32_DEP_2)
	v_fmac_f32_e32 v23, 0x32a5705f, v2
	v_exp_f32_e32 v4, v4
	v_sub_f32_e32 v12, v12, v24
	v_exp_f32_e32 v6, v6
	v_cvt_i32_f32_e32 v22, v24
	v_ldexp_f32 v4, v4, v20
	s_delay_alu instid0(VALU_DEP_3) | instskip(NEXT) | instid1(TRANS32_DEP_1)
	v_add_f32_e32 v12, v12, v23
	v_ldexp_f32 v6, v6, v21
	s_delay_alu instid0(VALU_DEP_3) | instskip(SKIP_1) | instid1(VALU_DEP_4)
	v_cndmask_b32_e32 v4, 0, v4, vcc_lo
	v_cmp_ngt_f32_e32 vcc_lo, 0xc2ce8ed0, v1
	v_exp_f32_e32 v12, v12
	s_delay_alu instid0(VALU_DEP_3) | instskip(SKIP_1) | instid1(TRANS32_DEP_1)
	v_cndmask_b32_e32 v6, 0, v6, vcc_lo
	v_cmp_nlt_f32_e32 vcc_lo, 0x42b17218, v0
	v_ldexp_f32 v12, v12, v22
	v_cndmask_b32_e32 v0, 0x7f800000, v4, vcc_lo
	v_cmp_nlt_f32_e32 vcc_lo, 0x42b17218, v1
	v_exp_f32_e32 v4, v13
	v_cvt_i32_f32_e32 v1, v19
	v_cndmask_b32_e32 v6, 0x7f800000, v6, vcc_lo
	v_cmp_ngt_f32_e32 vcc_lo, 0xc2ce8ed0, v2
	s_delay_alu instid0(TRANS32_DEP_1) | instid1(VALU_DEP_3)
	v_ldexp_f32 v1, v4, v1
	v_cndmask_b32_e32 v12, 0, v12, vcc_lo
	v_cmp_nlt_f32_e32 vcc_lo, 0x42b17218, v2
	s_delay_alu instid0(VALU_DEP_2) | instskip(SKIP_2) | instid1(VALU_DEP_1)
	v_cndmask_b32_e32 v4, 0x7f800000, v12, vcc_lo
	v_cmp_ngt_f32_e32 vcc_lo, 0xc2ce8ed0, v3
	v_dual_cndmask_b32 v0, 0, v0, s4 :: v_dual_cndmask_b32 v1, 0, v1, vcc_lo
	v_add_f32_e32 v13, v6, v0
	v_cmp_nlt_f32_e32 vcc_lo, 0x42b17218, v3
	s_delay_alu instid0(VALU_DEP_2) | instskip(NEXT) | instid1(VALU_DEP_1)
	v_cndmask_b32_e64 v2, v0, v13, s1
	v_dual_cndmask_b32 v13, 0x7f800000, v1 :: v_dual_add_f32 v12, v2, v4
	s_delay_alu instid0(VALU_DEP_1) | instskip(NEXT) | instid1(VALU_DEP_1)
	v_cndmask_b32_e64 v1, v2, v12, s2
	v_add_f32_e32 v2, v1, v13
	s_delay_alu instid0(VALU_DEP_1)
	v_cndmask_b32_e64 v1, v1, v2, s3
	ds_bpermute_b32 v2, v5, v1
	s_wait_dscnt 0x0
	v_add_f32_e32 v1, v1, v2
	ds_bpermute_b32 v2, v7, v1
	s_wait_dscnt 0x0
	v_add_f32_e32 v1, v1, v2
	;; [unrolled: 3-line block ×5, first 2 shown]
	s_delay_alu instid0(VALU_DEP_1) | instskip(SKIP_1) | instid1(VALU_DEP_2)
	v_div_scale_f32 v1, null, v5, v5, 1.0
	v_div_scale_f32 v7, vcc_lo, 1.0, v5, 1.0
	v_rcp_f32_e32 v2, v1
	v_nop
	s_delay_alu instid0(TRANS32_DEP_1) | instskip(NEXT) | instid1(VALU_DEP_1)
	v_fma_f32 v3, -v1, v2, 1.0
	v_fmac_f32_e32 v2, v3, v2
	s_delay_alu instid0(VALU_DEP_1) | instskip(NEXT) | instid1(VALU_DEP_1)
	v_mul_f32_e32 v3, v7, v2
	v_fma_f32 v8, -v1, v3, v7
	s_delay_alu instid0(VALU_DEP_1) | instskip(NEXT) | instid1(VALU_DEP_1)
	v_fmac_f32_e32 v3, v8, v2
	v_dual_fma_f32 v7, -v1, v3, v7 :: v_dual_mov_b32 v1, s0
	s_delay_alu instid0(VALU_DEP_1) | instskip(SKIP_1) | instid1(VALU_DEP_3)
	v_div_fmas_f32 v7, v7, v2, v3
	v_dual_mov_b32 v2, s0 :: v_dual_mov_b32 v3, s0
	v_dual_cndmask_b32 v1, v1, v6, s1 :: v_dual_cndmask_b32 v6, 0, v6, s1
	s_delay_alu instid0(VALU_DEP_3) | instskip(NEXT) | instid1(VALU_DEP_3)
	v_div_fixup_f32 v5, v7, v5, 1.0
	v_dual_cndmask_b32 v2, v2, v4, s2 :: v_dual_cndmask_b32 v4, 0, v4, s2
	v_cndmask_b32_e64 v7, 0, v13, s3
	s_delay_alu instid0(VALU_DEP_3) | instskip(SKIP_1) | instid1(VALU_DEP_3)
	v_dual_mul_f32 v8, v0, v5 :: v_dual_mul_f32 v6, v6, v5
	v_cndmask_b32_e64 v3, v3, v13, s3
	v_dual_mul_f32 v4, v4, v5 :: v_dual_mul_f32 v5, v7, v5
	s_delay_alu instid0(VALU_DEP_3) | instskip(NEXT) | instid1(VALU_DEP_2)
	v_dual_cndmask_b32 v0, v0, v8, s4 :: v_dual_cndmask_b32 v1, v1, v6, s1
	v_dual_cndmask_b32 v2, v2, v4, s2 :: v_dual_cndmask_b32 v3, v3, v5, s3
.LBB18_42:
	v_mul_lo_u32 v4, v14, s5
	s_mov_b32 s0, exec_lo
	s_delay_alu instid0(VALU_DEP_1) | instskip(NEXT) | instid1(VALU_DEP_1)
	v_ashrrev_i32_e32 v5, 31, v4
	v_lshl_add_u64 v[4:5], v[4:5], 2, s[10:11]
	v_cmpx_gt_i32_e64 s5, v15
	s_cbranch_execnz .LBB18_48
; %bb.43:
	s_or_b32 exec_lo, exec_lo, s0
	s_delay_alu instid0(SALU_CYCLE_1)
	s_mov_b32 s0, exec_lo
	v_cmpx_gt_i32_e64 s5, v18
	s_cbranch_execnz .LBB18_49
.LBB18_44:
	s_or_b32 exec_lo, exec_lo, s0
	s_delay_alu instid0(SALU_CYCLE_1)
	s_mov_b32 s0, exec_lo
	v_cmpx_gt_i32_e64 s5, v17
	s_cbranch_execnz .LBB18_50
.LBB18_45:
	s_or_b32 exec_lo, exec_lo, s0
	v_cmp_gt_i32_e32 vcc_lo, s5, v16
	s_and_b32 exec_lo, exec_lo, vcc_lo
	s_cbranch_execz .LBB18_47
.LBB18_46:
	v_dual_mov_b32 v11, 0 :: v_dual_mul_f32 v2, s7, v3
	s_delay_alu instid0(VALU_DEP_1)
	v_add_nc_u64_e32 v[0:1], v[4:5], v[10:11]
	global_store_b32 v[0:1], v2, off offset:384
.LBB18_47:
	s_endpgm
.LBB18_48:
	v_dual_mov_b32 v11, 0 :: v_dual_mul_f32 v0, s7, v0
	s_delay_alu instid0(VALU_DEP_1) | instskip(SKIP_3) | instid1(SALU_CYCLE_1)
	v_add_nc_u64_e32 v[6:7], v[4:5], v[10:11]
	global_store_b32 v[6:7], v0, off
	s_wait_xcnt 0x0
	s_or_b32 exec_lo, exec_lo, s0
	s_mov_b32 s0, exec_lo
	v_cmpx_gt_i32_e64 s5, v18
	s_cbranch_execz .LBB18_44
.LBB18_49:
	v_dual_mov_b32 v11, 0 :: v_dual_mul_f32 v0, s7, v1
	s_delay_alu instid0(VALU_DEP_1) | instskip(SKIP_3) | instid1(SALU_CYCLE_1)
	v_add_nc_u64_e32 v[6:7], v[4:5], v[10:11]
	global_store_b32 v[6:7], v0, off offset:128
	s_wait_xcnt 0x0
	s_or_b32 exec_lo, exec_lo, s0
	s_mov_b32 s0, exec_lo
	v_cmpx_gt_i32_e64 s5, v17
	s_cbranch_execz .LBB18_45
.LBB18_50:
	v_dual_mov_b32 v11, 0 :: v_dual_mul_f32 v2, s7, v2
	s_delay_alu instid0(VALU_DEP_1)
	v_add_nc_u64_e32 v[0:1], v[4:5], v[10:11]
	global_store_b32 v[0:1], v2, off offset:256
	s_wait_xcnt 0x0
	s_or_b32 exec_lo, exec_lo, s0
	v_cmp_gt_i32_e32 vcc_lo, s5, v16
	s_and_b32 exec_lo, exec_lo, vcc_lo
	s_cbranch_execnz .LBB18_46
	s_branch .LBB18_47
	.section	.rodata,"a",@progbits
	.p2align	6, 0x0
	.amdhsa_kernel _Z13topk_moe_cudaILi128ELb0EEvPKfPfPiS2_iiff15topk_moe_config
		.amdhsa_group_segment_fixed_size 0
		.amdhsa_private_segment_fixed_size 0
		.amdhsa_kernarg_size 312
		.amdhsa_user_sgpr_count 2
		.amdhsa_user_sgpr_dispatch_ptr 0
		.amdhsa_user_sgpr_queue_ptr 0
		.amdhsa_user_sgpr_kernarg_segment_ptr 1
		.amdhsa_user_sgpr_dispatch_id 0
		.amdhsa_user_sgpr_kernarg_preload_length 0
		.amdhsa_user_sgpr_kernarg_preload_offset 0
		.amdhsa_user_sgpr_private_segment_size 0
		.amdhsa_wavefront_size32 1
		.amdhsa_uses_dynamic_stack 0
		.amdhsa_enable_private_segment 0
		.amdhsa_system_sgpr_workgroup_id_x 1
		.amdhsa_system_sgpr_workgroup_id_y 0
		.amdhsa_system_sgpr_workgroup_id_z 0
		.amdhsa_system_sgpr_workgroup_info 0
		.amdhsa_system_vgpr_workitem_id 1
		.amdhsa_next_free_vgpr 30
		.amdhsa_next_free_sgpr 14
		.amdhsa_named_barrier_count 0
		.amdhsa_reserve_vcc 1
		.amdhsa_float_round_mode_32 0
		.amdhsa_float_round_mode_16_64 0
		.amdhsa_float_denorm_mode_32 3
		.amdhsa_float_denorm_mode_16_64 3
		.amdhsa_fp16_overflow 0
		.amdhsa_memory_ordered 1
		.amdhsa_forward_progress 1
		.amdhsa_inst_pref_size 39
		.amdhsa_round_robin_scheduling 0
		.amdhsa_exception_fp_ieee_invalid_op 0
		.amdhsa_exception_fp_denorm_src 0
		.amdhsa_exception_fp_ieee_div_zero 0
		.amdhsa_exception_fp_ieee_overflow 0
		.amdhsa_exception_fp_ieee_underflow 0
		.amdhsa_exception_fp_ieee_inexact 0
		.amdhsa_exception_int_div_zero 0
	.end_amdhsa_kernel
	.section	.text._Z13topk_moe_cudaILi128ELb0EEvPKfPfPiS2_iiff15topk_moe_config,"axG",@progbits,_Z13topk_moe_cudaILi128ELb0EEvPKfPfPiS2_iiff15topk_moe_config,comdat
.Lfunc_end18:
	.size	_Z13topk_moe_cudaILi128ELb0EEvPKfPfPiS2_iiff15topk_moe_config, .Lfunc_end18-_Z13topk_moe_cudaILi128ELb0EEvPKfPfPiS2_iiff15topk_moe_config
                                        ; -- End function
	.set _Z13topk_moe_cudaILi128ELb0EEvPKfPfPiS2_iiff15topk_moe_config.num_vgpr, 30
	.set _Z13topk_moe_cudaILi128ELb0EEvPKfPfPiS2_iiff15topk_moe_config.num_agpr, 0
	.set _Z13topk_moe_cudaILi128ELb0EEvPKfPfPiS2_iiff15topk_moe_config.numbered_sgpr, 14
	.set _Z13topk_moe_cudaILi128ELb0EEvPKfPfPiS2_iiff15topk_moe_config.num_named_barrier, 0
	.set _Z13topk_moe_cudaILi128ELb0EEvPKfPfPiS2_iiff15topk_moe_config.private_seg_size, 0
	.set _Z13topk_moe_cudaILi128ELb0EEvPKfPfPiS2_iiff15topk_moe_config.uses_vcc, 1
	.set _Z13topk_moe_cudaILi128ELb0EEvPKfPfPiS2_iiff15topk_moe_config.uses_flat_scratch, 0
	.set _Z13topk_moe_cudaILi128ELb0EEvPKfPfPiS2_iiff15topk_moe_config.has_dyn_sized_stack, 0
	.set _Z13topk_moe_cudaILi128ELb0EEvPKfPfPiS2_iiff15topk_moe_config.has_recursion, 0
	.set _Z13topk_moe_cudaILi128ELb0EEvPKfPfPiS2_iiff15topk_moe_config.has_indirect_call, 0
	.section	.AMDGPU.csdata,"",@progbits
; Kernel info:
; codeLenInByte = 4944
; TotalNumSgprs: 16
; NumVgprs: 30
; ScratchSize: 0
; MemoryBound: 0
; FloatMode: 240
; IeeeMode: 1
; LDSByteSize: 0 bytes/workgroup (compile time only)
; SGPRBlocks: 0
; VGPRBlocks: 1
; NumSGPRsForWavesPerEU: 16
; NumVGPRsForWavesPerEU: 30
; NamedBarCnt: 0
; Occupancy: 16
; WaveLimiterHint : 1
; COMPUTE_PGM_RSRC2:SCRATCH_EN: 0
; COMPUTE_PGM_RSRC2:USER_SGPR: 2
; COMPUTE_PGM_RSRC2:TRAP_HANDLER: 0
; COMPUTE_PGM_RSRC2:TGID_X_EN: 1
; COMPUTE_PGM_RSRC2:TGID_Y_EN: 0
; COMPUTE_PGM_RSRC2:TGID_Z_EN: 0
; COMPUTE_PGM_RSRC2:TIDIG_COMP_CNT: 1
	.section	.text._Z13topk_moe_cudaILi256ELb0EEvPKfPfPiS2_iiff15topk_moe_config,"axG",@progbits,_Z13topk_moe_cudaILi256ELb0EEvPKfPfPiS2_iiff15topk_moe_config,comdat
	.protected	_Z13topk_moe_cudaILi256ELb0EEvPKfPfPiS2_iiff15topk_moe_config ; -- Begin function _Z13topk_moe_cudaILi256ELb0EEvPKfPfPiS2_iiff15topk_moe_config
	.globl	_Z13topk_moe_cudaILi256ELb0EEvPKfPfPiS2_iiff15topk_moe_config
	.p2align	8
	.type	_Z13topk_moe_cudaILi256ELb0EEvPKfPfPiS2_iiff15topk_moe_config,@function
_Z13topk_moe_cudaILi256ELb0EEvPKfPfPiS2_iiff15topk_moe_config: ; @_Z13topk_moe_cudaILi256ELb0EEvPKfPfPiS2_iiff15topk_moe_config
; %bb.0:
	s_clause 0x1
	s_load_u16 s2, s[0:1], 0x46
	s_load_b128 s[8:11], s[0:1], 0x20
	s_bfe_u32 s3, ttmp6, 0x4000c
	s_and_b32 s4, ttmp6, 15
	s_add_co_i32 s3, s3, 1
	v_bfe_u32 v1, v0, 10, 10
	s_mul_i32 s3, ttmp9, s3
	s_delay_alu instid0(SALU_CYCLE_1) | instskip(SKIP_1) | instid1(SALU_CYCLE_1)
	s_add_co_i32 s4, s4, s3
	s_getreg_b32 s3, hwreg(HW_REG_IB_STS2, 6, 4)
	s_cmp_eq_u32 s3, 0
	s_cselect_b32 s3, ttmp9, s4
	s_wait_kmcnt 0x0
	v_mad_u32 v22, s3, s2, v1
	s_mov_b32 s2, exec_lo
	s_delay_alu instid0(VALU_DEP_1)
	v_cmpx_gt_i32_e64 s8, v22
	s_cbranch_execz .LBB19_51
; %bb.1:
	s_load_b128 s[12:15], s[0:1], 0x0
	v_dual_mov_b32 v21, 0 :: v_dual_lshlrev_b32 v2, 8, v22
	v_and_b32_e32 v23, 0x3ff, v0
	s_load_b64 s[6:7], s[0:1], 0x10
	s_delay_alu instid0(VALU_DEP_2) | instskip(SKIP_4) | instid1(VALU_DEP_1)
	v_ashrrev_i32_e32 v3, 31, v2
	global_load_u8 v6, v21, s[0:1] offset:50
	v_lshlrev_b32_e32 v20, 2, v23
	s_wait_kmcnt 0x0
	v_lshl_add_u64 v[0:1], v[2:3], 2, s[12:13]
	v_add_nc_u64_e32 v[4:5], v[0:1], v[20:21]
	global_load_u16 v0, v21, s[0:1] offset:48
	s_clause 0x7
	global_load_b32 v17, v[4:5], off
	global_load_b32 v12, v[4:5], off offset:128
	global_load_b32 v10, v[4:5], off offset:256
	;; [unrolled: 1-line block ×7, first 2 shown]
	s_wait_loadcnt 0x9
	v_and_b32_e32 v1, 1, v6
	s_wait_xcnt 0x8
	s_delay_alu instid0(VALU_DEP_1)
	v_cmp_eq_u32_e64 s0, 1, v1
	s_and_b32 vcc_lo, exec_lo, s0
	s_wait_loadcnt 0x8
	v_readfirstlane_b32 s1, v0
	s_and_b32 s5, 0xffff, s1
	s_cbranch_vccnz .LBB19_7
; %bb.2:
	v_and_b32_e32 v0, 1, v0
	s_mov_b32 s1, 0
	s_delay_alu instid0(VALU_DEP_1)
	v_cmp_eq_u32_e32 vcc_lo, 0, v0
	s_cbranch_vccz .LBB19_4
; %bb.3:
	v_mbcnt_lo_u32_b32 v1, -1, 0
	s_wait_loadcnt 0x6
	v_max3_num_f32 v0, v17, 0xff800000, v12
	s_wait_xcnt 0x0
	s_delay_alu instid0(VALU_DEP_2) | instskip(SKIP_1) | instid1(VALU_DEP_2)
	v_xor_b32_e32 v4, 16, v1
	s_wait_loadcnt 0x4
	v_max3_num_f32 v0, v0, v10, v11
	v_xor_b32_e32 v5, 8, v1
	s_delay_alu instid0(VALU_DEP_3) | instskip(SKIP_1) | instid1(VALU_DEP_3)
	v_cmp_gt_i32_e32 vcc_lo, 32, v4
	s_wait_loadcnt 0x2
	v_max3_num_f32 v0, v0, v14, v13
	v_cndmask_b32_e32 v4, v1, v4, vcc_lo
	s_wait_loadcnt 0x0
	s_delay_alu instid0(VALU_DEP_2) | instskip(SKIP_1) | instid1(VALU_DEP_3)
	v_max3_num_f32 v0, v0, v16, v15
	v_cmp_gt_i32_e32 vcc_lo, 32, v5
	v_dual_cndmask_b32 v5, v1, v5 :: v_dual_lshlrev_b32 v18, 2, v4
	ds_bpermute_b32 v4, v18, v0
	v_lshlrev_b32_e32 v19, 2, v5
	v_xor_b32_e32 v5, 4, v1
	s_delay_alu instid0(VALU_DEP_1) | instskip(SKIP_2) | instid1(VALU_DEP_1)
	v_cmp_gt_i32_e32 vcc_lo, 32, v5
	s_wait_dscnt 0x0
	v_max_num_f32_e32 v4, v4, v4
	v_max_num_f32_e32 v0, v0, v4
	ds_bpermute_b32 v4, v19, v0
	s_wait_dscnt 0x0
	v_dual_cndmask_b32 v5, v1, v5 :: v_dual_max_num_f32 v4, v4, v4
	s_delay_alu instid0(VALU_DEP_1) | instskip(SKIP_3) | instid1(VALU_DEP_1)
	v_dual_max_num_f32 v0, v0, v4 :: v_dual_lshlrev_b32 v21, 2, v5
	ds_bpermute_b32 v4, v21, v0
	s_wait_dscnt 0x0
	v_dual_max_num_f32 v4, v4, v4 :: v_dual_bitop2_b32 v5, 2, v1 bitop3:0x14
	v_cmp_gt_i32_e32 vcc_lo, 32, v5
	s_delay_alu instid0(VALU_DEP_2) | instskip(NEXT) | instid1(VALU_DEP_1)
	v_dual_max_num_f32 v0, v0, v4 :: v_dual_cndmask_b32 v5, v1, v5
	v_lshlrev_b32_e32 v24, 2, v5
	v_xor_b32_e32 v5, 1, v1
	s_delay_alu instid0(VALU_DEP_1) | instskip(SKIP_4) | instid1(VALU_DEP_1)
	v_cmp_gt_i32_e32 vcc_lo, 32, v5
	v_cndmask_b32_e32 v1, v1, v5, vcc_lo
	ds_bpermute_b32 v4, v24, v0
	s_wait_dscnt 0x0
	v_dual_max_num_f32 v4, v4, v4 :: v_dual_lshlrev_b32 v25, 2, v1
	v_max_num_f32_e32 v0, v0, v4
	ds_bpermute_b32 v1, v25, v0
	s_wait_dscnt 0x0
	v_max_num_f32_e32 v1, v1, v1
	s_delay_alu instid0(VALU_DEP_1) | instskip(NEXT) | instid1(VALU_DEP_1)
	v_max_num_f32_e32 v0, v0, v1
	v_sub_f32_e32 v6, v11, v0
	s_delay_alu instid0(VALU_DEP_1) | instskip(SKIP_3) | instid1(VALU_DEP_3)
	v_mul_f32_e32 v29, 0x3fb8aa3b, v6
	v_dual_sub_f32 v1, v17, v0 :: v_dual_sub_f32 v4, v12, v0
	v_dual_sub_f32 v5, v10, v0 :: v_dual_sub_f32 v9, v13, v0
	v_dual_sub_f32 v7, v14, v0 :: v_dual_sub_f32 v26, v16, v0
	v_dual_sub_f32 v27, v15, v0 :: v_dual_mul_f32 v0, 0x3fb8aa3b, v1
	s_delay_alu instid0(VALU_DEP_3) | instskip(SKIP_1) | instid1(VALU_DEP_3)
	v_dual_mul_f32 v8, 0x3fb8aa3b, v4 :: v_dual_mul_f32 v31, 0x3fb8aa3b, v9
	v_cmp_ngt_f32_e32 vcc_lo, 0xc2ce8ed0, v1
	v_mul_f32_e32 v33, 0x3fb8aa3b, v27
	s_delay_alu instid0(VALU_DEP_4)
	v_fma_f32 v34, 0x3fb8aa3b, v1, -v0
	v_rndne_f32_e32 v35, v0
	v_fma_f32 v44, 0x3fb8aa3b, v9, -v31
	v_rndne_f32_e32 v45, v31
	v_mul_f32_e32 v32, 0x3fb8aa3b, v26
	v_rndne_f32_e32 v49, v33
	v_sub_f32_e32 v0, v0, v35
	v_fmac_f32_e32 v44, 0x32a5705f, v9
	v_sub_f32_e32 v31, v31, v45
	v_fmac_f32_e32 v34, 0x32a5705f, v1
	v_fma_f32 v48, 0x3fb8aa3b, v27, -v33
	v_sub_f32_e32 v33, v33, v49
	v_fma_f32 v46, 0x3fb8aa3b, v26, -v32
	s_delay_alu instid0(VALU_DEP_4) | instskip(SKIP_2) | instid1(VALU_DEP_4)
	v_dual_add_f32 v31, v31, v44 :: v_dual_add_f32 v0, v0, v34
	v_rndne_f32_e32 v47, v32
	v_cvt_i32_f32_e32 v35, v35
	v_fmac_f32_e32 v46, 0x32a5705f, v26
	v_fma_f32 v40, 0x3fb8aa3b, v6, -v29
	v_exp_f32_e32 v0, v0
	v_rndne_f32_e32 v41, v29
	v_mul_f32_e32 v30, 0x3fb8aa3b, v7
	v_fmac_f32_e32 v48, 0x32a5705f, v27
	v_rndne_f32_e32 v37, v8
	v_cvt_i32_f32_e32 v49, v49
	v_sub_f32_e32 v29, v29, v41
	v_ldexp_f32 v0, v0, v35
	v_sub_f32_e32 v32, v32, v47
	v_cvt_i32_f32_e32 v47, v47
	v_fma_f32 v42, 0x3fb8aa3b, v7, -v30
	v_rndne_f32_e32 v43, v30
	s_delay_alu instid0(VALU_DEP_4) | instskip(SKIP_1) | instid1(VALU_DEP_3)
	v_dual_cndmask_b32 v0, 0, v0, vcc_lo :: v_dual_add_f32 v32, v32, v46
	v_fma_f32 v36, 0x3fb8aa3b, v4, -v8
	v_dual_sub_f32 v8, v8, v37 :: v_dual_sub_f32 v30, v30, v43
	v_cvt_i32_f32_e32 v43, v43
	s_delay_alu instid0(VALU_DEP_4)
	v_exp_f32_e32 v32, v32
	v_exp_f32_e32 v31, v31
	v_cvt_i32_f32_e32 v45, v45
	v_cvt_i32_f32_e32 v37, v37
	v_cmp_ngt_f32_e32 vcc_lo, 0xc2ce8ed0, v4
	v_cvt_i32_f32_e32 v41, v41
	v_add_f32_e32 v33, v33, v48
	v_ldexp_f32 v32, v32, v47
	v_fmac_f32_e32 v40, 0x32a5705f, v6
	v_mul_f32_e32 v28, 0x3fb8aa3b, v5
	v_ldexp_f32 v31, v31, v45
	v_exp_f32_e32 v33, v33
	s_delay_alu instid0(VALU_DEP_3) | instskip(NEXT) | instid1(VALU_DEP_3)
	v_add_f32_e32 v29, v29, v40
	v_fma_f32 v38, 0x3fb8aa3b, v5, -v28
	v_rndne_f32_e32 v39, v28
	s_delay_alu instid0(VALU_DEP_3) | instskip(NEXT) | instid1(VALU_DEP_2)
	v_exp_f32_e32 v29, v29
	v_fmac_f32_e32 v38, 0x32a5705f, v5
	s_delay_alu instid0(TRANS32_DEP_2) | instskip(SKIP_3) | instid1(TRANS32_DEP_1)
	v_ldexp_f32 v33, v33, v49
	v_fmac_f32_e32 v42, 0x32a5705f, v7
	v_sub_f32_e32 v28, v28, v39
	v_cvt_i32_f32_e32 v39, v39
	v_ldexp_f32 v29, v29, v41
	s_delay_alu instid0(VALU_DEP_4) | instskip(NEXT) | instid1(VALU_DEP_1)
	v_add_f32_e32 v30, v30, v42
	v_exp_f32_e32 v30, v30
	v_nop
	s_delay_alu instid0(TRANS32_DEP_1) | instskip(SKIP_1) | instid1(VALU_DEP_1)
	v_ldexp_f32 v30, v30, v43
	v_fmac_f32_e32 v36, 0x32a5705f, v4
	v_add_f32_e32 v8, v8, v36
	s_delay_alu instid0(VALU_DEP_1) | instskip(SKIP_1) | instid1(TRANS32_DEP_1)
	v_exp_f32_e32 v8, v8
	v_nop
	v_ldexp_f32 v8, v8, v37
	s_delay_alu instid0(VALU_DEP_1) | instskip(SKIP_1) | instid1(VALU_DEP_2)
	v_dual_cndmask_b32 v8, 0, v8, vcc_lo :: v_dual_add_f32 v28, v28, v38
	v_cmp_ngt_f32_e32 vcc_lo, 0xc2ce8ed0, v5
	v_exp_f32_e32 v28, v28
	v_nop
	s_delay_alu instid0(TRANS32_DEP_1) | instskip(NEXT) | instid1(VALU_DEP_1)
	v_ldexp_f32 v28, v28, v39
	v_cndmask_b32_e32 v28, 0, v28, vcc_lo
	v_cmp_nlt_f32_e32 vcc_lo, 0x42b17218, v1
	v_cndmask_b32_e32 v0, 0x7f800000, v0, vcc_lo
	v_cmp_nlt_f32_e32 vcc_lo, 0x42b17218, v4
	v_cndmask_b32_e32 v1, 0x7f800000, v8, vcc_lo
	v_cmp_ngt_f32_e32 vcc_lo, 0xc2ce8ed0, v6
	v_cndmask_b32_e32 v8, 0, v29, vcc_lo
	v_cmp_nlt_f32_e32 vcc_lo, 0x42b17218, v5
	v_cndmask_b32_e32 v4, 0x7f800000, v28, vcc_lo
	v_cmp_ngt_f32_e32 vcc_lo, 0xc2ce8ed0, v7
	v_cndmask_b32_e32 v29, 0, v30, vcc_lo
	v_cmp_nlt_f32_e32 vcc_lo, 0x42b17218, v6
	v_add_f32_e32 v28, v0, v1
	s_delay_alu instid0(VALU_DEP_1)
	v_add_f32_e32 v6, v4, v28
	v_cndmask_b32_e32 v5, 0x7f800000, v8, vcc_lo
	v_cmp_ngt_f32_e32 vcc_lo, 0xc2ce8ed0, v9
	v_cndmask_b32_e32 v28, 0, v31, vcc_lo
	v_cmp_nlt_f32_e32 vcc_lo, 0x42b17218, v7
	v_cndmask_b32_e32 v8, 0x7f800000, v29, vcc_lo
	v_cmp_ngt_f32_e32 vcc_lo, 0xc2ce8ed0, v26
	v_cndmask_b32_e32 v7, 0, v32, vcc_lo
	v_cmp_nlt_f32_e32 vcc_lo, 0x42b17218, v9
	v_dual_add_f32 v6, v5, v6 :: v_dual_cndmask_b32 v9, 0x7f800000, v28
	v_cmp_ngt_f32_e32 vcc_lo, 0xc2ce8ed0, v27
	v_cndmask_b32_e32 v29, 0, v33, vcc_lo
	v_cmp_nlt_f32_e32 vcc_lo, 0x42b17218, v26
	s_delay_alu instid0(VALU_DEP_4) | instskip(SKIP_2) | instid1(VALU_DEP_3)
	v_add_f32_e32 v28, v8, v6
	v_cndmask_b32_e32 v6, 0x7f800000, v7, vcc_lo
	v_cmp_nlt_f32_e32 vcc_lo, 0x42b17218, v27
	v_dual_cndmask_b32 v7, 0x7f800000, v29 :: v_dual_add_f32 v26, v9, v28
	s_delay_alu instid0(VALU_DEP_1) | instskip(NEXT) | instid1(VALU_DEP_1)
	v_add_f32_e32 v26, v6, v26
	v_add_f32_e32 v26, v7, v26
	ds_bpermute_b32 v18, v18, v26
	s_wait_dscnt 0x0
	v_add_f32_e32 v18, v26, v18
	ds_bpermute_b32 v19, v19, v18
	s_wait_dscnt 0x0
	;; [unrolled: 3-line block ×5, first 2 shown]
	v_add_f32_e32 v18, v18, v19
	s_delay_alu instid0(VALU_DEP_1) | instskip(SKIP_1) | instid1(VALU_DEP_2)
	v_div_scale_f32 v19, null, v18, v18, 1.0
	v_div_scale_f32 v25, vcc_lo, 1.0, v18, 1.0
	v_rcp_f32_e32 v21, v19
	v_nop
	s_delay_alu instid0(TRANS32_DEP_1) | instskip(NEXT) | instid1(VALU_DEP_1)
	v_fma_f32 v24, -v19, v21, 1.0
	v_fmac_f32_e32 v21, v24, v21
	s_delay_alu instid0(VALU_DEP_1) | instskip(NEXT) | instid1(VALU_DEP_1)
	v_mul_f32_e32 v24, v25, v21
	v_fma_f32 v26, -v19, v24, v25
	s_delay_alu instid0(VALU_DEP_1) | instskip(NEXT) | instid1(VALU_DEP_1)
	v_fmac_f32_e32 v24, v26, v21
	v_fma_f32 v19, -v19, v24, v25
	s_delay_alu instid0(VALU_DEP_1) | instskip(NEXT) | instid1(VALU_DEP_1)
	v_div_fmas_f32 v19, v19, v21, v24
	v_div_fixup_f32 v18, v19, v18, 1.0
	s_delay_alu instid0(VALU_DEP_1)
	v_pk_mul_f32 v[6:7], v[6:7], v[18:19] op_sel_hi:[1,0]
	v_pk_mul_f32 v[8:9], v[8:9], v[18:19] op_sel_hi:[1,0]
	;; [unrolled: 1-line block ×4, first 2 shown]
	s_and_not1_b32 vcc_lo, exec_lo, s1
	s_cbranch_vccz .LBB19_5
	s_branch .LBB19_6
.LBB19_4:
                                        ; implicit-def: $vgpr7
                                        ; implicit-def: $vgpr9
                                        ; implicit-def: $vgpr5
                                        ; implicit-def: $vgpr1
.LBB19_5:
	s_wait_loadcnt 0x6
	v_dual_mul_f32 v0, 0xbfb8aa3b, v17 :: v_dual_mul_f32 v1, 0xbfb8aa3b, v12
	s_wait_loadcnt 0x4
	s_wait_xcnt 0x0
	v_dual_mul_f32 v4, 0xbfb8aa3b, v10 :: v_dual_mul_f32 v5, 0xbfb8aa3b, v11
	v_cmp_nlt_f32_e32 vcc_lo, 0x42ce8ed0, v17
	v_rndne_f32_e32 v6, v0
	v_fma_f32 v7, 0xbfb8aa3b, v17, -v0
	v_fma_f32 v9, 0xbfb8aa3b, v12, -v1
	v_rndne_f32_e32 v8, v1
	s_wait_loadcnt 0x3
	v_mul_f32_e32 v18, 0xbfb8aa3b, v14
	v_dual_sub_f32 v0, v0, v6 :: v_dual_fmac_f32 v7, 0xb2a5705f, v17
	v_fmac_f32_e32 v9, 0xb2a5705f, v12
	v_sub_f32_e32 v1, v1, v8
	v_rndne_f32_e32 v19, v4
	v_fma_f32 v21, 0xbfb8aa3b, v10, -v4
	v_add_f32_e32 v0, v0, v7
	v_cvt_i32_f32_e32 v6, v6
	s_delay_alu instid0(VALU_DEP_4) | instskip(SKIP_1) | instid1(VALU_DEP_4)
	v_dual_add_f32 v1, v1, v9 :: v_dual_sub_f32 v4, v4, v19
	v_rndne_f32_e32 v7, v5
	v_exp_f32_e32 v0, v0
	v_cvt_i32_f32_e32 v8, v8
	s_delay_alu instid0(VALU_DEP_3)
	v_exp_f32_e32 v1, v1
	v_fma_f32 v9, 0xbfb8aa3b, v11, -v5
	v_cvt_i32_f32_e32 v19, v19
	s_wait_loadcnt 0x1
	v_cmp_ngt_f32_e64 s2, 0xc2b17218, v16
	v_sub_f32_e32 v5, v5, v7
	v_ldexp_f32 v0, v0, v6
	v_fmac_f32_e32 v21, 0xb2a5705f, v10
	v_ldexp_f32 v1, v1, v8
	v_rndne_f32_e32 v6, v18
	s_delay_alu instid0(VALU_DEP_4) | instskip(NEXT) | instid1(VALU_DEP_4)
	v_dual_fmac_f32 v9, 0xb2a5705f, v11 :: v_dual_cndmask_b32 v0, 0, v0
	v_add_f32_e32 v4, v4, v21
	v_cmp_nlt_f32_e32 vcc_lo, 0x42ce8ed0, v12
	v_fma_f32 v8, 0xbfb8aa3b, v14, -v18
	v_cvt_i32_f32_e32 v7, v7
	s_delay_alu instid0(VALU_DEP_4) | instskip(SKIP_1) | instid1(TRANS32_DEP_1)
	v_exp_f32_e32 v4, v4
	v_nop
	v_ldexp_f32 v4, v4, v19
	v_cndmask_b32_e32 v1, 0, v1, vcc_lo
	v_cmp_ngt_f32_e32 vcc_lo, 0xc2b17218, v17
	v_cndmask_b32_e32 v0, 0x7f800000, v0, vcc_lo
	v_cmp_ngt_f32_e32 vcc_lo, 0xc2b17218, v12
	v_dual_sub_f32 v12, v18, v6 :: v_dual_add_f32 v5, v5, v9
	v_mul_f32_e32 v9, 0xbfb8aa3b, v13
	v_fmac_f32_e32 v8, 0xb2a5705f, v14
	v_cndmask_b32_e32 v1, 0x7f800000, v1, vcc_lo
	v_cmp_nlt_f32_e32 vcc_lo, 0x42ce8ed0, v10
	v_exp_f32_e32 v5, v5
	v_cvt_i32_f32_e32 v6, v6
	v_add_f32_e32 v8, v12, v8
	v_pk_add_f32 v[0:1], v[0:1], 1.0 op_sel_hi:[1,0]
	v_cndmask_b32_e32 v4, 0, v4, vcc_lo
	v_cmp_ngt_f32_e32 vcc_lo, 0xc2b17218, v10
	s_delay_alu instid0(TRANS32_DEP_1)
	v_ldexp_f32 v5, v5, v7
	v_exp_f32_e32 v7, v8
	v_nop
	v_mul_f32_e32 v8, 0xbfb8aa3b, v16
	v_rndne_f32_e32 v17, v9
	v_fma_f32 v18, 0xbfb8aa3b, v13, -v9
	v_div_scale_f32 v24, s1, 1.0, v1, 1.0
	s_delay_alu instid0(VALU_DEP_4) | instskip(NEXT) | instid1(VALU_DEP_4)
	v_rndne_f32_e32 v10, v8
	v_sub_f32_e32 v9, v9, v17
	s_delay_alu instid0(VALU_DEP_4)
	v_fmac_f32_e32 v18, 0xb2a5705f, v13
	v_cndmask_b32_e32 v4, 0x7f800000, v4, vcc_lo
	v_ldexp_f32 v6, v7, v6
	v_cmp_nlt_f32_e32 vcc_lo, 0x42ce8ed0, v11
	v_fma_f32 v12, 0xbfb8aa3b, v16, -v8
	v_add_f32_e32 v9, v9, v18
	v_sub_f32_e32 v8, v8, v10
	v_cvt_i32_f32_e32 v10, v10
	v_cndmask_b32_e32 v5, 0, v5, vcc_lo
	v_cmp_nlt_f32_e32 vcc_lo, 0x42ce8ed0, v14
	v_exp_f32_e32 v7, v9
	v_nop
	v_cvt_i32_f32_e32 v9, v17
	v_div_scale_f32 v17, null, v1, v1, 1.0
	v_cndmask_b32_e32 v6, 0, v6, vcc_lo
	v_cmp_ngt_f32_e32 vcc_lo, 0xc2b17218, v11
	s_delay_alu instid0(TRANS32_DEP_1) | instid1(VALU_DEP_4)
	v_ldexp_f32 v7, v7, v9
	s_wait_loadcnt 0x0
	v_mul_f32_e32 v9, 0xbfb8aa3b, v15
	s_delay_alu instid0(VALU_DEP_1) | instskip(SKIP_1) | instid1(VALU_DEP_1)
	v_rndne_f32_e32 v11, v9
	v_fmac_f32_e32 v12, 0xb2a5705f, v16
	v_add_f32_e32 v8, v8, v12
	v_fma_f32 v12, 0xbfb8aa3b, v15, -v9
	s_delay_alu instid0(VALU_DEP_4) | instskip(SKIP_1) | instid1(VALU_DEP_4)
	v_sub_f32_e32 v9, v9, v11
	v_cvt_i32_f32_e32 v11, v11
	v_exp_f32_e32 v8, v8
	s_delay_alu instid0(VALU_DEP_3) | instskip(NEXT) | instid1(VALU_DEP_1)
	v_fmac_f32_e32 v12, 0xb2a5705f, v15
	v_add_f32_e32 v9, v9, v12
	v_rcp_f32_e32 v12, v17
	v_cndmask_b32_e32 v5, 0x7f800000, v5, vcc_lo
	v_cmp_ngt_f32_e32 vcc_lo, 0xc2b17218, v14
	v_div_scale_f32 v14, null, v0, v0, 1.0
	v_ldexp_f32 v8, v8, v10
	v_cndmask_b32_e32 v6, 0x7f800000, v6, vcc_lo
	v_cmp_nlt_f32_e32 vcc_lo, 0x42ce8ed0, v13
	v_cndmask_b32_e32 v7, 0, v7, vcc_lo
	v_cmp_ngt_f32_e32 vcc_lo, 0xc2b17218, v13
	v_rcp_f32_e32 v13, v14
	v_nop
	s_delay_alu instid0(TRANS32_DEP_1) | instskip(NEXT) | instid1(VALU_DEP_1)
	v_fma_f32 v10, -v14, v13, 1.0
	v_fmac_f32_e32 v13, v10, v13
	v_fma_f32 v10, -v17, v12, 1.0
	s_delay_alu instid0(VALU_DEP_1) | instskip(SKIP_2) | instid1(VALU_DEP_3)
	v_dual_fmac_f32 v12, v10, v12 :: v_dual_cndmask_b32 v7, 0x7f800000, v7
	v_cmp_nlt_f32_e32 vcc_lo, 0x42ce8ed0, v16
	v_pk_add_f32 v[4:5], v[4:5], 1.0 op_sel_hi:[1,0]
	v_mul_f32_e32 v16, v24, v12
	s_delay_alu instid0(VALU_DEP_4) | instskip(SKIP_3) | instid1(VALU_DEP_3)
	v_pk_add_f32 v[6:7], v[6:7], 1.0 op_sel_hi:[1,0]
	v_cndmask_b32_e32 v8, 0, v8, vcc_lo
	v_div_scale_f32 v18, vcc_lo, 1.0, v0, 1.0
	v_div_scale_f32 v19, null, v4, v4, 1.0
	v_cndmask_b32_e64 v8, 0x7f800000, v8, s2
	s_delay_alu instid0(VALU_DEP_3) | instskip(SKIP_1) | instid1(VALU_DEP_4)
	v_mul_f32_e32 v21, v18, v13
	v_cmp_nlt_f32_e64 s2, 0x42ce8ed0, v15
	v_rcp_f32_e32 v25, v19
	s_delay_alu instid0(VALU_DEP_2) | instskip(SKIP_2) | instid1(TRANS32_DEP_1)
	v_fma_f32 v10, -v14, v21, v18
	v_exp_f32_e32 v9, v9
	v_nop
	v_ldexp_f32 v9, v9, v11
	s_delay_alu instid0(TRANS32_DEP_2) | instskip(NEXT) | instid1(VALU_DEP_2)
	v_fma_f32 v11, -v19, v25, 1.0
	v_cndmask_b32_e64 v9, 0, v9, s2
	v_cmp_ngt_f32_e64 s2, 0xc2b17218, v15
	v_dual_fma_f32 v15, -v17, v16, v24 :: v_dual_fmac_f32 v21, v10, v13
	s_delay_alu instid0(VALU_DEP_2) | instskip(SKIP_1) | instid1(VALU_DEP_3)
	v_cndmask_b32_e64 v9, 0x7f800000, v9, s2
	v_div_scale_f32 v26, s2, 1.0, v4, 1.0
	v_fmac_f32_e32 v16, v15, v12
	v_fmac_f32_e32 v25, v11, v25
	s_delay_alu instid0(VALU_DEP_4) | instskip(SKIP_2) | instid1(VALU_DEP_3)
	v_pk_add_f32 v[10:11], v[8:9], 1.0 op_sel_hi:[1,0]
	v_fma_f32 v8, -v14, v21, v18
	v_div_scale_f32 v14, null, v5, v5, 1.0
	v_div_scale_f32 v18, null, v10, v10, 1.0
	s_delay_alu instid0(VALU_DEP_3)
	v_div_fmas_f32 v8, v8, v13, v21
	v_fma_f32 v13, -v17, v16, v24
	s_mov_b32 vcc_lo, s1
	v_div_scale_f32 v21, s1, 1.0, v6, 1.0
	v_mul_f32_e32 v9, v26, v25
	v_div_scale_f32 v17, null, v7, v7, 1.0
	v_div_fmas_f32 v12, v13, v12, v16
	v_rcp_f32_e32 v13, v14
	s_delay_alu instid0(VALU_DEP_3)
	v_fma_f32 v15, -v19, v9, v26
	v_div_fixup_f32 v0, v8, v0, 1.0
	s_mov_b32 vcc_lo, s2
	v_div_fixup_f32 v1, v12, v1, 1.0
	v_div_scale_f32 v24, null, v11, v11, 1.0
	v_fmac_f32_e32 v9, v15, v25
	v_div_scale_f32 v15, null, v6, v6, 1.0
	v_fma_f32 v12, -v14, v13, 1.0
	s_delay_alu instid0(VALU_DEP_4) | instskip(NEXT) | instid1(VALU_DEP_3)
	v_rcp_f32_e32 v29, v24
	v_fma_f32 v8, -v19, v9, v26
	v_rcp_f32_e32 v19, v17
	v_rcp_f32_e32 v16, v15
	s_delay_alu instid0(VALU_DEP_1) | instskip(SKIP_1) | instid1(TRANS32_DEP_2)
	v_div_fmas_f32 v8, v8, v25, v9
	v_div_scale_f32 v9, vcc_lo, 1.0, v5, 1.0
	v_fma_f32 v25, -v17, v19, 1.0
	v_fma_f32 v30, -v24, v29, 1.0
	s_delay_alu instid0(VALU_DEP_4) | instskip(NEXT) | instid1(VALU_DEP_3)
	v_div_fixup_f32 v4, v8, v4, 1.0
	v_fmac_f32_e32 v19, v25, v19
	v_div_scale_f32 v25, s2, 1.0, v7, 1.0
	v_fmac_f32_e32 v13, v12, v13
	v_fma_f32 v12, -v15, v16, 1.0
	s_delay_alu instid0(VALU_DEP_3) | instskip(SKIP_1) | instid1(VALU_DEP_3)
	v_dual_fmac_f32 v29, v30, v29 :: v_dual_mul_f32 v31, v25, v19
	v_div_scale_f32 v30, s4, 1.0, v11, 1.0
	v_fmac_f32_e32 v16, v12, v16
	v_rcp_f32_e32 v12, v18
	s_delay_alu instid0(VALU_DEP_1) | instskip(NEXT) | instid1(TRANS32_DEP_1)
	v_mul_f32_e32 v27, v21, v16
	v_fma_f32 v28, -v18, v12, 1.0
	s_delay_alu instid0(VALU_DEP_1) | instskip(NEXT) | instid1(VALU_DEP_1)
	v_dual_mul_f32 v8, v9, v13 :: v_dual_fmac_f32 v12, v28, v12
	v_fma_f32 v26, -v14, v8, v9
	v_div_scale_f32 v28, s3, 1.0, v10, 1.0
	s_delay_alu instid0(VALU_DEP_2) | instskip(NEXT) | instid1(VALU_DEP_2)
	v_dual_fmac_f32 v8, v26, v13 :: v_dual_fma_f32 v26, -v15, v27, v21
	v_mul_f32_e32 v32, v28, v12
	s_delay_alu instid0(VALU_DEP_2) | instskip(NEXT) | instid1(VALU_DEP_3)
	v_fma_f32 v9, -v14, v8, v9
	v_dual_fmac_f32 v27, v26, v16 :: v_dual_fma_f32 v14, -v17, v31, v25
	s_delay_alu instid0(VALU_DEP_3) | instskip(NEXT) | instid1(VALU_DEP_3)
	v_fma_f32 v26, -v18, v32, v28
	v_div_fmas_f32 v8, v9, v13, v8
	s_delay_alu instid0(VALU_DEP_3) | instskip(NEXT) | instid1(VALU_DEP_4)
	v_fma_f32 v9, -v15, v27, v21
	v_fmac_f32_e32 v31, v14, v19
	v_mul_f32_e32 v33, v30, v29
	s_mov_b32 vcc_lo, s1
	v_div_fixup_f32 v5, v8, v5, 1.0
	v_div_fmas_f32 v9, v9, v16, v27
	s_delay_alu instid0(VALU_DEP_3) | instskip(SKIP_2) | instid1(VALU_DEP_3)
	v_dual_fma_f32 v14, -v17, v31, v25 :: v_dual_fma_f32 v13, -v24, v33, v30
	v_fmac_f32_e32 v32, v26, v12
	s_mov_b32 vcc_lo, s2
	v_div_fixup_f32 v8, v9, v6, 1.0
	s_delay_alu instid0(VALU_DEP_3) | instskip(NEXT) | instid1(VALU_DEP_3)
	v_div_fmas_f32 v14, v14, v19, v31
	v_dual_fmac_f32 v33, v13, v29 :: v_dual_fma_f32 v13, -v18, v32, v28
	s_mov_b32 vcc_lo, s3
	s_delay_alu instid0(VALU_DEP_2) | instskip(NEXT) | instid1(VALU_DEP_2)
	v_div_fixup_f32 v9, v14, v7, 1.0
	v_fma_f32 v15, -v24, v33, v30
	s_delay_alu instid0(VALU_DEP_3) | instskip(SKIP_1) | instid1(VALU_DEP_2)
	v_div_fmas_f32 v12, v13, v12, v32
	s_mov_b32 vcc_lo, s4
	v_div_fmas_f32 v13, v15, v29, v33
	s_delay_alu instid0(VALU_DEP_2) | instskip(NEXT) | instid1(VALU_DEP_2)
	v_div_fixup_f32 v6, v12, v10, 1.0
	v_div_fixup_f32 v7, v13, v11, 1.0
.LBB19_6:
	s_wait_loadcnt 0x6
	v_dual_mov_b32 v17, v0 :: v_dual_mov_b32 v12, v1
	s_wait_loadcnt 0x4
	v_dual_mov_b32 v10, v4 :: v_dual_mov_b32 v11, v5
	;; [unrolled: 2-line block ×4, first 2 shown]
.LBB19_7:
	s_lshr_b32 s3, s5, 8
	s_cmp_gt_i32 s9, 0
	s_mov_b32 s1, 0
	s_cbranch_scc1 .LBB19_9
; %bb.8:
	s_bitcmp1_b32 s3, 0
	s_cselect_b32 s12, -1, 0
	s_branch .LBB19_10
.LBB19_9:
	s_mov_b32 s1, -1
                                        ; implicit-def: $sgpr12
.LBB19_10:
	v_dual_add_nc_u32 v30, 32, v23 :: v_dual_add_nc_u32 v29, 64, v23
	v_add_nc_u32_e32 v28, 0x60, v23
	v_add_nc_u32_e32 v27, 0x80, v23
	;; [unrolled: 1-line block ×5, first 2 shown]
	v_mbcnt_lo_u32_b32 v21, -1, 0
	s_and_not1_b32 vcc_lo, exec_lo, s1
	s_mov_b32 s13, 0
	s_cbranch_vccnz .LBB19_37
; %bb.11:
	v_lshl_add_u64 v[18:19], v[2:3], 2, s[6:7]
	v_xor_b32_e32 v2, 2, v21
	v_xor_b32_e32 v0, 16, v21
	s_wait_loadcnt 0x7
	v_cmp_o_f32_e32 vcc_lo, v17, v17
	s_bitcmp1_b32 s3, 0
	v_xor_b32_e32 v3, 1, v21
	s_wait_loadcnt 0x1
	v_cmp_o_f32_e64 s1, v16, v16
	v_cmp_gt_i32_e64 s2, 32, v0
	s_cselect_b32 s12, -1, 0
	v_xor_b32_e32 v1, 8, v21
	v_cndmask_b32_e64 v16, 0xff7fffff, v16, s1
	v_cndmask_b32_e64 v0, v21, v0, s2
	v_cndmask_b32_e32 v8, 0xff7fffff, v17, vcc_lo
	v_cmp_o_f32_e32 vcc_lo, v12, v12
	v_cmp_gt_i32_e64 s3, 32, v1
	s_wait_loadcnt 0x0
	v_cmp_o_f32_e64 s2, v15, v15
	v_dual_lshlrev_b32 v17, 2, v0 :: v_dual_bitop2_b32 v0, 4, v21 bitop3:0x14
	v_dual_cndmask_b32 v9, 0xff7fffff, v12 :: v_dual_mov_b32 v12, 0
	v_cndmask_b32_e64 v1, v21, v1, s3
	v_cmp_o_f32_e32 vcc_lo, v10, v10
	s_delay_alu instid0(VALU_DEP_4) | instskip(SKIP_3) | instid1(VALU_DEP_4)
	v_cmp_gt_i32_e64 s3, 32, v0
	v_cndmask_b32_e64 v15, 0xff7fffff, v15, s2
	v_dual_mov_b32 v4, v12 :: v_dual_mov_b32 v5, v12
	v_dual_mov_b32 v6, v12 :: v_dual_mov_b32 v7, v12
	v_cndmask_b32_e64 v0, v21, v0, s3
	v_cmp_gt_i32_e64 s3, 32, v2
	s_delay_alu instid0(VALU_DEP_1) | instskip(SKIP_2) | instid1(VALU_DEP_3)
	v_dual_lshlrev_b32 v32, 2, v0 :: v_dual_cndmask_b32 v2, v21, v2, s3
	v_mov_b32_e32 v0, 0
	v_cmp_gt_i32_e64 s3, 32, v3
	v_lshlrev_b32_e32 v33, 2, v2
	v_dual_cndmask_b32 v10, 0xff7fffff, v10 :: v_dual_lshlrev_b32 v31, 2, v1
	v_cmp_o_f32_e32 vcc_lo, v11, v11
	s_delay_alu instid0(VALU_DEP_4)
	v_dual_mov_b32 v2, v12 :: v_dual_cndmask_b32 v3, v21, v3, s3
	v_cmp_o_f32_e64 s3, v14, v14
	v_mov_b32_e32 v1, v12
	v_cndmask_b32_e32 v11, 0xff7fffff, v11, vcc_lo
	v_cmp_o_f32_e32 vcc_lo, v13, v13
	v_dual_mov_b32 v3, v12 :: v_dual_lshlrev_b32 v34, 2, v3
	v_cndmask_b32_e64 v14, 0xff7fffff, v14, s3
	v_cndmask_b32_e32 v13, 0xff7fffff, v13, vcc_lo
	s_branch .LBB19_13
.LBB19_12:                              ;   in Loop: Header=BB19_13 Depth=1
	s_wait_xcnt 0x0
	s_or_b32 exec_lo, exec_lo, s1
	s_wait_dscnt 0x0
	v_mov_b64_e32 v[42:43], v[6:7]
	v_mov_b64_e32 v[36:37], v[0:1]
	s_and_b32 s1, s13, 31
	s_lshr_b32 m0, s13, 5
	v_cmp_eq_u32_e32 vcc_lo, s1, v23
	v_add_nc_u64_e32 v[18:19], 4, v[18:19]
	v_mov_b64_e32 v[40:41], v[4:5]
	v_mov_b64_e32 v[38:39], v[2:3]
	v_movreld_b32_e32 v36, v35
	v_dual_cndmask_b32 v7, v7, v43 :: v_dual_cndmask_b32 v6, v6, v42
	s_delay_alu instid0(VALU_DEP_4) | instskip(NEXT) | instid1(VALU_DEP_4)
	v_dual_cndmask_b32 v5, v5, v41 :: v_dual_cndmask_b32 v4, v4, v40
	v_dual_cndmask_b32 v3, v3, v39 :: v_dual_cndmask_b32 v2, v2, v38
	;; [unrolled: 1-line block ×3, first 2 shown]
	s_add_co_i32 s13, s13, 1
	s_delay_alu instid0(SALU_CYCLE_1)
	s_cmp_eq_u32 s9, s13
	s_cbranch_scc1 .LBB19_38
.LBB19_13:                              ; =>This Inner Loop Header: Depth=1
	v_cmp_gt_f32_e32 vcc_lo, v9, v8
	s_mov_b32 s3, exec_lo
	v_dual_cndmask_b32 v35, v8, v9 :: v_dual_cndmask_b32 v36, v23, v30
	s_delay_alu instid0(VALU_DEP_1) | instskip(NEXT) | instid1(VALU_DEP_1)
	v_cmp_gt_f32_e64 s1, v10, v35
	v_dual_cndmask_b32 v35, v35, v10, s1 :: v_dual_cndmask_b32 v36, v36, v29, s1
	s_delay_alu instid0(VALU_DEP_1) | instskip(NEXT) | instid1(VALU_DEP_2)
	v_cmp_gt_f32_e32 vcc_lo, v11, v35
	v_dual_cndmask_b32 v35, v35, v11 :: v_dual_cndmask_b32 v36, v36, v28
	s_delay_alu instid0(VALU_DEP_1) | instskip(NEXT) | instid1(VALU_DEP_2)
	v_cmp_gt_f32_e32 vcc_lo, v14, v35
	v_dual_cndmask_b32 v35, v35, v14 :: v_dual_cndmask_b32 v36, v36, v27
	s_delay_alu instid0(VALU_DEP_1) | instskip(NEXT) | instid1(VALU_DEP_2)
	v_cmp_gt_f32_e32 vcc_lo, v13, v35
	v_dual_cndmask_b32 v35, v35, v13 :: v_dual_cndmask_b32 v36, v36, v26
	s_delay_alu instid0(VALU_DEP_1) | instskip(NEXT) | instid1(VALU_DEP_2)
	v_cmp_gt_f32_e32 vcc_lo, v16, v35
	v_dual_cndmask_b32 v35, v35, v16 :: v_dual_cndmask_b32 v36, v36, v25
	s_delay_alu instid0(VALU_DEP_1) | instskip(NEXT) | instid1(VALU_DEP_2)
	v_cmp_gt_f32_e32 vcc_lo, v15, v35
	v_dual_cndmask_b32 v35, v35, v15 :: v_dual_cndmask_b32 v36, v36, v24
	ds_bpermute_b32 v37, v17, v35
	ds_bpermute_b32 v38, v17, v36
	s_wait_dscnt 0x1
	v_cmp_lt_f32_e64 s2, v35, v37
	v_cmpx_nlt_f32_e32 v35, v37
	s_cbranch_execz .LBB19_15
; %bb.14:                               ;   in Loop: Header=BB19_13 Depth=1
	v_cmp_eq_f32_e32 vcc_lo, v35, v37
	s_wait_dscnt 0x0
	v_cmp_lt_i32_e64 s1, v38, v36
	s_and_not1_b32 s2, s2, exec_lo
	s_and_b32 s1, vcc_lo, s1
	s_delay_alu instid0(SALU_CYCLE_1) | instskip(NEXT) | instid1(SALU_CYCLE_1)
	s_and_b32 s1, s1, exec_lo
	s_or_b32 s2, s2, s1
.LBB19_15:                              ;   in Loop: Header=BB19_13 Depth=1
	s_or_b32 exec_lo, exec_lo, s3
	s_and_saveexec_b32 s1, s2
	s_cbranch_execz .LBB19_17
; %bb.16:                               ;   in Loop: Header=BB19_13 Depth=1
	s_wait_dscnt 0x0
	v_dual_mov_b32 v35, v37 :: v_dual_mov_b32 v36, v38
.LBB19_17:                              ;   in Loop: Header=BB19_13 Depth=1
	s_or_b32 exec_lo, exec_lo, s1
	s_wait_dscnt 0x0
	ds_bpermute_b32 v38, v31, v35
	ds_bpermute_b32 v37, v31, v36
	s_mov_b32 s3, exec_lo
	s_wait_dscnt 0x1
	v_cmp_lt_f32_e64 s2, v35, v38
	v_cmpx_nlt_f32_e32 v35, v38
	s_cbranch_execz .LBB19_19
; %bb.18:                               ;   in Loop: Header=BB19_13 Depth=1
	v_cmp_eq_f32_e32 vcc_lo, v35, v38
	s_wait_dscnt 0x0
	v_cmp_lt_i32_e64 s1, v37, v36
	s_and_not1_b32 s2, s2, exec_lo
	s_and_b32 s1, vcc_lo, s1
	s_delay_alu instid0(SALU_CYCLE_1) | instskip(NEXT) | instid1(SALU_CYCLE_1)
	s_and_b32 s1, s1, exec_lo
	s_or_b32 s2, s2, s1
.LBB19_19:                              ;   in Loop: Header=BB19_13 Depth=1
	s_or_b32 exec_lo, exec_lo, s3
	s_and_saveexec_b32 s1, s2
	s_cbranch_execz .LBB19_21
; %bb.20:                               ;   in Loop: Header=BB19_13 Depth=1
	s_wait_dscnt 0x0
	v_dual_mov_b32 v35, v38 :: v_dual_mov_b32 v36, v37
.LBB19_21:                              ;   in Loop: Header=BB19_13 Depth=1
	s_or_b32 exec_lo, exec_lo, s1
	ds_bpermute_b32 v38, v32, v35
	s_wait_dscnt 0x1
	ds_bpermute_b32 v37, v32, v36
	s_mov_b32 s3, exec_lo
	s_wait_dscnt 0x1
	v_cmp_lt_f32_e64 s2, v35, v38
	v_cmpx_nlt_f32_e32 v35, v38
	s_cbranch_execz .LBB19_23
; %bb.22:                               ;   in Loop: Header=BB19_13 Depth=1
	v_cmp_eq_f32_e32 vcc_lo, v35, v38
	s_wait_dscnt 0x0
	v_cmp_lt_i32_e64 s1, v37, v36
	s_and_not1_b32 s2, s2, exec_lo
	s_and_b32 s1, vcc_lo, s1
	s_delay_alu instid0(SALU_CYCLE_1) | instskip(NEXT) | instid1(SALU_CYCLE_1)
	s_and_b32 s1, s1, exec_lo
	s_or_b32 s2, s2, s1
.LBB19_23:                              ;   in Loop: Header=BB19_13 Depth=1
	s_or_b32 exec_lo, exec_lo, s3
	s_and_saveexec_b32 s1, s2
	s_cbranch_execz .LBB19_25
; %bb.24:                               ;   in Loop: Header=BB19_13 Depth=1
	s_wait_dscnt 0x0
	v_dual_mov_b32 v35, v38 :: v_dual_mov_b32 v36, v37
.LBB19_25:                              ;   in Loop: Header=BB19_13 Depth=1
	s_or_b32 exec_lo, exec_lo, s1
	ds_bpermute_b32 v38, v33, v35
	s_wait_dscnt 0x1
	ds_bpermute_b32 v37, v33, v36
	s_mov_b32 s3, exec_lo
	s_wait_dscnt 0x1
	v_cmp_lt_f32_e64 s2, v35, v38
	v_cmpx_nlt_f32_e32 v35, v38
	s_cbranch_execz .LBB19_27
; %bb.26:                               ;   in Loop: Header=BB19_13 Depth=1
	v_cmp_eq_f32_e32 vcc_lo, v35, v38
	s_wait_dscnt 0x0
	v_cmp_lt_i32_e64 s1, v37, v36
	s_and_not1_b32 s2, s2, exec_lo
	s_and_b32 s1, vcc_lo, s1
	s_delay_alu instid0(SALU_CYCLE_1) | instskip(NEXT) | instid1(SALU_CYCLE_1)
	s_and_b32 s1, s1, exec_lo
	s_or_b32 s2, s2, s1
.LBB19_27:                              ;   in Loop: Header=BB19_13 Depth=1
	s_or_b32 exec_lo, exec_lo, s3
	s_and_saveexec_b32 s1, s2
	s_cbranch_execz .LBB19_29
; %bb.28:                               ;   in Loop: Header=BB19_13 Depth=1
	s_wait_dscnt 0x0
	v_dual_mov_b32 v35, v38 :: v_dual_mov_b32 v36, v37
.LBB19_29:                              ;   in Loop: Header=BB19_13 Depth=1
	s_or_b32 exec_lo, exec_lo, s1
	s_wait_dscnt 0x0
	ds_bpermute_b32 v37, v34, v35
	ds_bpermute_b32 v38, v34, v36
	s_mov_b32 s3, exec_lo
	s_wait_dscnt 0x1
	v_cmp_lt_f32_e64 s2, v35, v37
	v_cmpx_nlt_f32_e32 v35, v37
	s_cbranch_execz .LBB19_31
; %bb.30:                               ;   in Loop: Header=BB19_13 Depth=1
	v_cmp_eq_f32_e32 vcc_lo, v35, v37
	s_wait_dscnt 0x0
	v_cmp_lt_i32_e64 s1, v38, v36
	s_and_not1_b32 s2, s2, exec_lo
	s_and_b32 s1, vcc_lo, s1
	s_delay_alu instid0(SALU_CYCLE_1) | instskip(NEXT) | instid1(SALU_CYCLE_1)
	s_and_b32 s1, s1, exec_lo
	s_or_b32 s2, s2, s1
.LBB19_31:                              ;   in Loop: Header=BB19_13 Depth=1
	s_or_b32 exec_lo, exec_lo, s3
	s_and_saveexec_b32 s1, s2
	s_cbranch_execz .LBB19_33
; %bb.32:                               ;   in Loop: Header=BB19_13 Depth=1
	s_wait_dscnt 0x0
	v_dual_mov_b32 v35, v37 :: v_dual_mov_b32 v36, v38
.LBB19_33:                              ;   in Loop: Header=BB19_13 Depth=1
	s_or_b32 exec_lo, exec_lo, s1
	s_delay_alu instid0(VALU_DEP_1) | instskip(NEXT) | instid1(VALU_DEP_1)
	v_and_b32_e32 v37, 31, v36
	v_cmp_eq_u32_e32 vcc_lo, v37, v23
	s_and_saveexec_b32 s16, vcc_lo
	s_cbranch_execz .LBB19_35
; %bb.34:                               ;   in Loop: Header=BB19_13 Depth=1
	v_ashrrev_i32_e32 v37, 31, v36
	s_delay_alu instid0(VALU_DEP_1) | instskip(NEXT) | instid1(VALU_DEP_1)
	v_lshrrev_b32_e32 v37, 27, v37
	v_add_nc_u32_e32 v37, v36, v37
	s_delay_alu instid0(VALU_DEP_1) | instskip(NEXT) | instid1(VALU_DEP_1)
	v_ashrrev_i32_e32 v37, 5, v37
	v_cmp_ne_u32_e64 s1, 6, v37
	v_cmp_ne_u32_e64 s2, 5, v37
	;; [unrolled: 1-line block ×8, first 2 shown]
	v_cndmask_b32_e64 v16, 0xff800000, v16, s1
	v_cndmask_b32_e64 v13, 0xff800000, v13, s2
	v_cndmask_b32_e64 v14, 0xff800000, v14, s3
	v_cndmask_b32_e64 v11, 0xff800000, v11, s4
	v_cndmask_b32_e64 v15, 0xff800000, v15, s8
	v_cndmask_b32_e64 v10, 0xff800000, v10, s5
	v_cndmask_b32_e64 v9, 0xff800000, v9, s6
	v_cndmask_b32_e64 v8, 0xff800000, v8, s7
.LBB19_35:                              ;   in Loop: Header=BB19_13 Depth=1
	s_or_b32 exec_lo, exec_lo, s16
	s_and_saveexec_b32 s1, vcc_lo
	s_cbranch_execz .LBB19_12
; %bb.36:                               ;   in Loop: Header=BB19_13 Depth=1
	v_add_f32_e32 v37, v12, v35
	global_store_b32 v[18:19], v36, off
	v_cndmask_b32_e64 v12, v12, v37, s12
	s_branch .LBB19_12
.LBB19_37:
	s_wait_loadcnt 0x6
	v_mov_b32_e32 v12, 0
	s_wait_loadcnt 0x2
	s_delay_alu instid0(VALU_DEP_1)
	v_dual_mov_b32 v13, v12 :: v_dual_mov_b32 v14, v12
	s_wait_loadcnt 0x0
	v_dual_mov_b32 v15, v12 :: v_dual_mov_b32 v16, v12
	v_dual_mov_b32 v17, v12 :: v_dual_mov_b32 v18, v12
	v_mov_b32_e32 v19, v12
	v_mov_b64_e32 v[0:1], v[12:13]
	s_delay_alu instid0(VALU_DEP_4) | instskip(NEXT) | instid1(VALU_DEP_4)
	v_mov_b64_e32 v[2:3], v[14:15]
	v_mov_b64_e32 v[4:5], v[16:17]
	s_delay_alu instid0(VALU_DEP_4)
	v_mov_b64_e32 v[6:7], v[18:19]
.LBB19_38:
	s_and_b32 vcc_lo, exec_lo, s12
	s_cbranch_vccz .LBB19_40
; %bb.39:
	v_xor_b32_e32 v10, 4, v21
	v_xor_b32_e32 v8, 16, v21
	;; [unrolled: 1-line block ×3, first 2 shown]
	s_delay_alu instid0(VALU_DEP_2) | instskip(SKIP_1) | instid1(VALU_DEP_3)
	v_cmp_gt_i32_e32 vcc_lo, 32, v8
	v_cndmask_b32_e32 v8, v21, v8, vcc_lo
	v_cmp_gt_i32_e32 vcc_lo, 32, v9
	s_delay_alu instid0(VALU_DEP_2)
	v_dual_cndmask_b32 v9, v21, v9 :: v_dual_lshlrev_b32 v8, 2, v8
	v_cmp_gt_i32_e32 vcc_lo, 32, v10
	ds_bpermute_b32 v8, v8, v12
	v_dual_cndmask_b32 v10, v21, v10 :: v_dual_lshlrev_b32 v9, 2, v9
	s_wait_dscnt 0x0
	v_add_f32_e32 v8, v12, v8
	ds_bpermute_b32 v9, v9, v8
	s_wait_dscnt 0x0
	v_dual_lshlrev_b32 v10, 2, v10 :: v_dual_add_f32 v8, v8, v9
	ds_bpermute_b32 v9, v10, v8
	v_xor_b32_e32 v10, 2, v21
	s_delay_alu instid0(VALU_DEP_1) | instskip(SKIP_2) | instid1(VALU_DEP_1)
	v_cmp_gt_i32_e32 vcc_lo, 32, v10
	s_wait_dscnt 0x0
	v_dual_cndmask_b32 v10, v21, v10, vcc_lo :: v_dual_add_f32 v8, v8, v9
	v_lshlrev_b32_e32 v10, 2, v10
	ds_bpermute_b32 v9, v10, v8
	v_xor_b32_e32 v10, 1, v21
	s_delay_alu instid0(VALU_DEP_1) | instskip(SKIP_2) | instid1(VALU_DEP_1)
	v_cmp_gt_i32_e32 vcc_lo, 32, v10
	s_wait_dscnt 0x0
	v_dual_add_f32 v8, v8, v9 :: v_dual_cndmask_b32 v10, v21, v10, vcc_lo
	v_lshlrev_b32_e32 v10, 2, v10
	ds_bpermute_b32 v9, v10, v8
	v_max_num_f32_e64 v10, s10, s10
	s_wait_dscnt 0x0
	v_add_f32_e32 v8, v8, v9
	s_delay_alu instid0(VALU_DEP_1) | instskip(NEXT) | instid1(VALU_DEP_1)
	v_max_num_f32_e32 v8, v8, v10
	v_div_scale_f32 v9, null, v8, v8, 1.0
	s_delay_alu instid0(VALU_DEP_1) | instskip(SKIP_1) | instid1(TRANS32_DEP_1)
	v_rcp_f32_e32 v10, v9
	v_nop
	v_fma_f32 v11, -v9, v10, 1.0
	s_delay_alu instid0(VALU_DEP_1) | instskip(SKIP_1) | instid1(VALU_DEP_1)
	v_fmac_f32_e32 v10, v11, v10
	v_div_scale_f32 v12, vcc_lo, 1.0, v8, 1.0
	v_mul_f32_e32 v11, v12, v10
	s_delay_alu instid0(VALU_DEP_1) | instskip(NEXT) | instid1(VALU_DEP_1)
	v_fma_f32 v13, -v9, v11, v12
	v_fmac_f32_e32 v11, v13, v10
	s_delay_alu instid0(VALU_DEP_1) | instskip(NEXT) | instid1(VALU_DEP_1)
	v_fma_f32 v9, -v9, v11, v12
	v_div_fmas_f32 v9, v9, v10, v11
	s_delay_alu instid0(VALU_DEP_1) | instskip(NEXT) | instid1(VALU_DEP_1)
	v_div_fixup_f32 v8, v9, v8, 1.0
	v_pk_mul_f32 v[6:7], v[8:9], v[6:7] op_sel_hi:[0,1]
	v_pk_mul_f32 v[4:5], v[8:9], v[4:5] op_sel_hi:[0,1]
	;; [unrolled: 1-line block ×4, first 2 shown]
.LBB19_40:
	v_cmp_gt_i32_e64 s1, s9, v30
	v_cmp_gt_i32_e64 s2, s9, v29
	;; [unrolled: 1-line block ×8, first 2 shown]
	s_and_not1_b32 vcc_lo, exec_lo, s0
	s_cbranch_vccnz .LBB19_42
; %bb.41:
	v_dual_max_num_f32 v8, v0, v0 :: v_dual_max_num_f32 v9, v1, v1
	v_dual_max_num_f32 v10, v2, v2 :: v_dual_bitop2_b32 v14, 1, v21 bitop3:0x14
	v_xor_b32_e32 v12, 4, v21
	s_delay_alu instid0(VALU_DEP_3) | instskip(NEXT) | instid1(VALU_DEP_1)
	v_max_num_f32_e32 v8, 0xff800000, v8
	v_cndmask_b32_e64 v8, 0xff800000, v8, s8
	s_delay_alu instid0(VALU_DEP_1) | instskip(NEXT) | instid1(VALU_DEP_1)
	v_max_num_f32_e32 v9, v8, v9
	v_cndmask_b32_e64 v8, v8, v9, s1
	s_delay_alu instid0(VALU_DEP_1) | instskip(NEXT) | instid1(VALU_DEP_1)
	v_dual_max_num_f32 v9, v8, v10 :: v_dual_max_num_f32 v10, v3, v3
	v_cndmask_b32_e64 v8, v8, v9, s2
	s_delay_alu instid0(VALU_DEP_1) | instskip(SKIP_1) | instid1(VALU_DEP_2)
	v_max_num_f32_e32 v9, v8, v10
	v_max_num_f32_e32 v10, v4, v4
	v_cndmask_b32_e64 v8, v8, v9, s3
	s_delay_alu instid0(VALU_DEP_1) | instskip(NEXT) | instid1(VALU_DEP_1)
	v_max_num_f32_e32 v9, v8, v10
	v_cndmask_b32_e64 v8, v8, v9, s4
	s_delay_alu instid0(VALU_DEP_1) | instskip(NEXT) | instid1(VALU_DEP_1)
	v_dual_max_num_f32 v9, v5, v5 :: v_dual_max_num_f32 v10, v8, v8
	v_max_num_f32_e32 v9, v10, v9
	s_delay_alu instid0(VALU_DEP_1) | instskip(NEXT) | instid1(VALU_DEP_1)
	v_dual_cndmask_b32 v8, v8, v9, s5 :: v_dual_max_num_f32 v9, v6, v6
	v_max_num_f32_e32 v10, v8, v8
	s_delay_alu instid0(VALU_DEP_1) | instskip(NEXT) | instid1(VALU_DEP_1)
	v_dual_max_num_f32 v9, v10, v9 :: v_dual_max_num_f32 v10, v7, v7
	v_cndmask_b32_e64 v8, v8, v9, s6
	v_xor_b32_e32 v9, 16, v21
	s_delay_alu instid0(VALU_DEP_1) | instskip(SKIP_1) | instid1(VALU_DEP_1)
	v_cmp_gt_i32_e32 vcc_lo, 32, v9
	v_cndmask_b32_e32 v9, v21, v9, vcc_lo
	v_dual_lshlrev_b32 v9, 2, v9 :: v_dual_max_num_f32 v11, v8, v8
	s_delay_alu instid0(VALU_DEP_1) | instskip(NEXT) | instid1(VALU_DEP_1)
	v_dual_max_num_f32 v10, v11, v10 :: v_dual_bitop2_b32 v11, 8, v21 bitop3:0x14
	v_cndmask_b32_e64 v8, v8, v10, s7
	s_delay_alu instid0(VALU_DEP_2) | instskip(SKIP_4) | instid1(VALU_DEP_2)
	v_cmp_gt_i32_e32 vcc_lo, 32, v11
	ds_bpermute_b32 v10, v9, v8
	v_dual_cndmask_b32 v11, v21, v11 :: v_dual_max_num_f32 v8, v8, v8
	v_cmp_gt_i32_e32 vcc_lo, 32, v12
	s_wait_dscnt 0x0
	v_dual_max_num_f32 v10, v10, v10 :: v_dual_lshlrev_b32 v11, 2, v11
	s_delay_alu instid0(VALU_DEP_1) | instskip(SKIP_3) | instid1(VALU_DEP_1)
	v_max_num_f32_e32 v8, v8, v10
	ds_bpermute_b32 v10, v11, v8
	s_wait_dscnt 0x0
	v_dual_cndmask_b32 v12, v21, v12, vcc_lo :: v_dual_max_num_f32 v10, v10, v10
	v_dual_lshlrev_b32 v12, 2, v12 :: v_dual_max_num_f32 v8, v8, v10
	ds_bpermute_b32 v10, v12, v8
	s_wait_dscnt 0x0
	v_dual_max_num_f32 v10, v10, v10 :: v_dual_bitop2_b32 v13, 2, v21 bitop3:0x14
	s_delay_alu instid0(VALU_DEP_1) | instskip(NEXT) | instid1(VALU_DEP_2)
	v_cmp_gt_i32_e32 vcc_lo, 32, v13
	v_dual_max_num_f32 v8, v8, v10 :: v_dual_cndmask_b32 v13, v21, v13
	v_cmp_gt_i32_e32 vcc_lo, 32, v14
	s_delay_alu instid0(VALU_DEP_2) | instskip(SKIP_4) | instid1(VALU_DEP_1)
	v_dual_cndmask_b32 v14, v21, v14 :: v_dual_lshlrev_b32 v13, 2, v13
	ds_bpermute_b32 v10, v13, v8
	v_lshlrev_b32_e32 v14, 2, v14
	s_wait_dscnt 0x0
	v_max_num_f32_e32 v10, v10, v10
	v_max_num_f32_e32 v8, v8, v10
	ds_bpermute_b32 v10, v14, v8
	s_wait_dscnt 0x0
	v_max_num_f32_e32 v10, v10, v10
	s_delay_alu instid0(VALU_DEP_1) | instskip(NEXT) | instid1(VALU_DEP_1)
	v_max_num_f32_e32 v8, v8, v10
	v_sub_f32_e32 v4, v4, v8
	s_delay_alu instid0(VALU_DEP_1) | instskip(SKIP_3) | instid1(VALU_DEP_3)
	v_mul_f32_e32 v17, 0x3fb8aa3b, v4
	v_dual_sub_f32 v0, v0, v8 :: v_dual_sub_f32 v1, v1, v8
	v_dual_sub_f32 v2, v2, v8 :: v_dual_sub_f32 v3, v3, v8
	;; [unrolled: 1-line block ×3, first 2 shown]
	v_dual_sub_f32 v7, v7, v8 :: v_dual_mul_f32 v10, 0x3fb8aa3b, v1
	s_delay_alu instid0(VALU_DEP_3) | instskip(NEXT) | instid1(VALU_DEP_3)
	v_dual_mul_f32 v8, 0x3fb8aa3b, v0 :: v_dual_mul_f32 v15, 0x3fb8aa3b, v2
	v_dual_mul_f32 v16, 0x3fb8aa3b, v3 :: v_dual_mul_f32 v19, 0x3fb8aa3b, v6
	s_delay_alu instid0(VALU_DEP_3) | instskip(NEXT) | instid1(VALU_DEP_3)
	v_fma_f32 v33, 0x3fb8aa3b, v1, -v10
	v_fma_f32 v31, 0x3fb8aa3b, v0, -v8
	v_rndne_f32_e32 v32, v8
	v_rndne_f32_e32 v34, v10
	v_fma_f32 v35, 0x3fb8aa3b, v2, -v15
	v_fma_f32 v37, 0x3fb8aa3b, v3, -v16
	v_fmac_f32_e32 v31, 0x32a5705f, v0
	v_dual_sub_f32 v8, v8, v32 :: v_dual_fmac_f32 v33, 0x32a5705f, v1
	v_sub_f32_e32 v10, v10, v34
	v_fmac_f32_e32 v35, 0x32a5705f, v2
	v_fmac_f32_e32 v37, 0x32a5705f, v3
	s_delay_alu instid0(VALU_DEP_4) | instskip(SKIP_3) | instid1(VALU_DEP_4)
	v_add_f32_e32 v8, v8, v31
	v_dual_mul_f32 v18, 0x3fb8aa3b, v5 :: v_dual_mul_f32 v21, 0x3fb8aa3b, v7
	v_add_f32_e32 v10, v10, v33
	v_cvt_i32_f32_e32 v32, v32
	v_exp_f32_e32 v8, v8
	v_rndne_f32_e32 v36, v15
	v_fma_f32 v41, 0x3fb8aa3b, v5, -v18
	v_exp_f32_e32 v10, v10
	v_cvt_i32_f32_e32 v34, v34
	v_cmp_ngt_f32_e32 vcc_lo, 0xc2ce8ed0, v0
	v_rndne_f32_e32 v38, v16
	v_ldexp_f32 v8, v8, v32
	v_rndne_f32_e32 v40, v17
	v_sub_f32_e32 v15, v15, v36
	v_fmac_f32_e32 v41, 0x32a5705f, v5
	v_ldexp_f32 v10, v10, v34
	v_cndmask_b32_e32 v8, 0, v8, vcc_lo
	v_cmp_ngt_f32_e32 vcc_lo, 0xc2ce8ed0, v1
	v_fma_f32 v39, 0x3fb8aa3b, v4, -v17
	v_dual_sub_f32 v16, v16, v38 :: v_dual_sub_f32 v17, v17, v40
	v_add_f32_e32 v15, v15, v35
	v_rndne_f32_e32 v42, v18
	v_cndmask_b32_e32 v10, 0, v10, vcc_lo
	v_cmp_nlt_f32_e32 vcc_lo, 0x42b17218, v0
	v_fma_f32 v43, 0x3fb8aa3b, v6, -v19
	v_exp_f32_e32 v15, v15
	v_cvt_i32_f32_e32 v36, v36
	v_dual_fmac_f32 v39, 0x32a5705f, v4 :: v_dual_sub_f32 v18, v18, v42
	v_cndmask_b32_e32 v0, 0x7f800000, v8, vcc_lo
	v_cmp_nlt_f32_e32 vcc_lo, 0x42b17218, v1
	v_dual_fmac_f32 v43, 0x32a5705f, v6 :: v_dual_add_f32 v16, v16, v37
	v_rndne_f32_e32 v44, v19
	v_ldexp_f32 v15, v15, v36
	v_cndmask_b32_e64 v0, 0, v0, s8
	v_dual_cndmask_b32 v1, 0x7f800000, v10 :: v_dual_add_f32 v10, v17, v39
	v_cmp_ngt_f32_e32 vcc_lo, 0xc2ce8ed0, v2
	v_exp_f32_e32 v8, v16
	v_cvt_i32_f32_e32 v31, v38
	v_sub_f32_e32 v16, v19, v44
	v_exp_f32_e32 v10, v10
	v_cndmask_b32_e32 v15, 0, v15, vcc_lo
	v_cmp_nlt_f32_e32 vcc_lo, 0x42b17218, v2
	v_add_f32_e32 v17, v1, v0
	v_ldexp_f32 v8, v8, v31
	v_fma_f32 v45, 0x3fb8aa3b, v7, -v21
	v_cvt_i32_f32_e32 v33, v40
	v_cndmask_b32_e32 v2, 0x7f800000, v15, vcc_lo
	v_cmp_ngt_f32_e32 vcc_lo, 0xc2ce8ed0, v3
	v_cndmask_b32_e64 v15, v0, v17, s1
	v_add_f32_e32 v17, v18, v41
	v_rndne_f32_e32 v46, v21
	v_ldexp_f32 v10, v10, v33
	v_cndmask_b32_e32 v8, 0, v8, vcc_lo
	v_cmp_nlt_f32_e32 vcc_lo, 0x42b17218, v3
	v_dual_fmac_f32 v45, 0x32a5705f, v7 :: v_dual_add_f32 v18, v15, v2
	v_exp_f32_e32 v17, v17
	v_cvt_i32_f32_e32 v35, v42
	v_cndmask_b32_e32 v3, 0x7f800000, v8, vcc_lo
	v_cmp_ngt_f32_e32 vcc_lo, 0xc2ce8ed0, v4
	v_dual_cndmask_b32 v8, v15, v18, s2 :: v_dual_add_f32 v15, v16, v43
	v_sub_f32_e32 v16, v21, v46
	s_delay_alu instid0(TRANS32_DEP_1) | instskip(NEXT) | instid1(VALU_DEP_3)
	v_ldexp_f32 v17, v17, v35
	v_dual_cndmask_b32 v10, 0, v10, vcc_lo :: v_dual_add_f32 v18, v8, v3
	v_cmp_nlt_f32_e32 vcc_lo, 0x42b17218, v4
	v_exp_f32_e32 v15, v15
	v_dual_cndmask_b32 v2, 0, v2, s2 :: v_dual_cndmask_b32 v3, 0, v3, s3
	s_delay_alu instid0(VALU_DEP_3) | instskip(SKIP_3) | instid1(VALU_DEP_2)
	v_cndmask_b32_e32 v4, 0x7f800000, v10, vcc_lo
	v_cmp_ngt_f32_e32 vcc_lo, 0xc2ce8ed0, v5
	v_dual_cndmask_b32 v8, v8, v18, s3 :: v_dual_cndmask_b32 v17, 0, v17, vcc_lo
	v_cmp_nlt_f32_e32 vcc_lo, 0x42b17218, v5
	v_dual_add_f32 v18, v8, v4 :: v_dual_cndmask_b32 v5, 0x7f800000, v17
	v_cmp_ngt_f32_e32 vcc_lo, 0xc2ce8ed0, v6
	v_add_f32_e32 v10, v16, v45
	v_cvt_i32_f32_e32 v16, v44
	s_delay_alu instid0(VALU_DEP_4) | instskip(NEXT) | instid1(VALU_DEP_2)
	v_cndmask_b32_e64 v8, v8, v18, s4
	v_ldexp_f32 v15, v15, v16
	v_cvt_i32_f32_e32 v16, v46
	s_delay_alu instid0(VALU_DEP_3) | instskip(NEXT) | instid1(VALU_DEP_3)
	v_dual_add_f32 v17, v8, v5 :: v_dual_cndmask_b32 v4, 0, v4, s4
	v_cndmask_b32_e32 v15, 0, v15, vcc_lo
	v_exp_f32_e32 v10, v10
	v_cmp_nlt_f32_e32 vcc_lo, 0x42b17218, v6
	s_delay_alu instid0(VALU_DEP_2) | instskip(NEXT) | instid1(TRANS32_DEP_1)
	v_cndmask_b32_e32 v6, 0x7f800000, v15, vcc_lo
	v_ldexp_f32 v10, v10, v16
	v_cmp_ngt_f32_e32 vcc_lo, 0xc2ce8ed0, v7
	s_delay_alu instid0(VALU_DEP_2) | instskip(SKIP_1) | instid1(VALU_DEP_2)
	v_dual_cndmask_b32 v8, v8, v17, s5 :: v_dual_cndmask_b32 v10, 0, v10, vcc_lo
	v_cmp_nlt_f32_e32 vcc_lo, 0x42b17218, v7
	v_cndmask_b32_e32 v7, 0x7f800000, v10, vcc_lo
	s_delay_alu instid0(VALU_DEP_3) | instskip(NEXT) | instid1(VALU_DEP_1)
	v_add_f32_e32 v15, v8, v6
	v_cndmask_b32_e64 v8, v8, v15, s6
	s_delay_alu instid0(VALU_DEP_1) | instskip(NEXT) | instid1(VALU_DEP_1)
	v_add_f32_e32 v10, v8, v7
	v_cndmask_b32_e64 v8, v8, v10, s7
	ds_bpermute_b32 v9, v9, v8
	s_wait_dscnt 0x0
	v_add_f32_e32 v8, v8, v9
	v_dual_cndmask_b32 v5, 0, v5, s5 :: v_dual_cndmask_b32 v7, 0, v7, s7
	ds_bpermute_b32 v9, v11, v8
	s_wait_dscnt 0x0
	v_add_f32_e32 v8, v8, v9
	ds_bpermute_b32 v9, v12, v8
	s_wait_dscnt 0x0
	v_add_f32_e32 v8, v8, v9
	;; [unrolled: 3-line block ×4, first 2 shown]
	s_delay_alu instid0(VALU_DEP_1) | instskip(SKIP_1) | instid1(VALU_DEP_2)
	v_div_scale_f32 v9, null, v8, v8, 1.0
	v_div_scale_f32 v12, vcc_lo, 1.0, v8, 1.0
	v_rcp_f32_e32 v10, v9
	v_nop
	s_delay_alu instid0(TRANS32_DEP_1) | instskip(NEXT) | instid1(VALU_DEP_1)
	v_fma_f32 v11, -v9, v10, 1.0
	v_fmac_f32_e32 v10, v11, v10
	s_delay_alu instid0(VALU_DEP_1) | instskip(NEXT) | instid1(VALU_DEP_1)
	v_dual_mul_f32 v11, v12, v10 :: v_dual_cndmask_b32 v1, 0, v1, s1
	v_dual_cndmask_b32 v6, 0, v6, s6 :: v_dual_fma_f32 v13, -v9, v11, v12
	s_delay_alu instid0(VALU_DEP_1) | instskip(NEXT) | instid1(VALU_DEP_1)
	v_fmac_f32_e32 v11, v13, v10
	v_fma_f32 v9, -v9, v11, v12
	s_delay_alu instid0(VALU_DEP_1) | instskip(NEXT) | instid1(VALU_DEP_1)
	v_div_fmas_f32 v9, v9, v10, v11
	v_div_fixup_f32 v8, v9, v8, 1.0
	s_delay_alu instid0(VALU_DEP_1) | instskip(SKIP_3) | instid1(VALU_DEP_4)
	v_dual_mul_f32 v9, v0, v8 :: v_dual_mul_f32 v10, v1, v8
	v_dual_mul_f32 v11, v2, v8 :: v_dual_mul_f32 v12, v3, v8
	;; [unrolled: 1-line block ×4, first 2 shown]
	v_dual_cndmask_b32 v0, v0, v9, s8 :: v_dual_cndmask_b32 v1, v1, v10, s1
	s_delay_alu instid0(VALU_DEP_4) | instskip(NEXT) | instid1(VALU_DEP_4)
	v_dual_cndmask_b32 v2, v2, v11, s2 :: v_dual_cndmask_b32 v3, v3, v12, s3
	v_dual_cndmask_b32 v4, v4, v13, s4 :: v_dual_cndmask_b32 v5, v5, v14, s5
	s_delay_alu instid0(VALU_DEP_4)
	v_dual_cndmask_b32 v6, v6, v15, s6 :: v_dual_cndmask_b32 v7, v7, v8, s7
.LBB19_42:
	v_mul_lo_u32 v8, v22, s9
	s_mov_b32 s0, exec_lo
	s_delay_alu instid0(VALU_DEP_1) | instskip(NEXT) | instid1(VALU_DEP_1)
	v_ashrrev_i32_e32 v9, 31, v8
	v_lshl_add_u64 v[8:9], v[8:9], 2, s[14:15]
	v_cmpx_gt_i32_e64 s9, v23
	s_cbranch_execnz .LBB19_52
; %bb.43:
	s_or_b32 exec_lo, exec_lo, s0
	s_delay_alu instid0(SALU_CYCLE_1)
	s_mov_b32 s0, exec_lo
	v_cmpx_gt_i32_e64 s9, v30
	s_cbranch_execnz .LBB19_53
.LBB19_44:
	s_or_b32 exec_lo, exec_lo, s0
	s_delay_alu instid0(SALU_CYCLE_1)
	s_mov_b32 s0, exec_lo
	v_cmpx_gt_i32_e64 s9, v29
	s_cbranch_execnz .LBB19_54
.LBB19_45:
	s_or_b32 exec_lo, exec_lo, s0
	s_delay_alu instid0(SALU_CYCLE_1)
	s_mov_b32 s0, exec_lo
	v_cmpx_gt_i32_e64 s9, v28
	s_cbranch_execnz .LBB19_55
.LBB19_46:
	s_or_b32 exec_lo, exec_lo, s0
	s_delay_alu instid0(SALU_CYCLE_1)
	s_mov_b32 s0, exec_lo
	v_cmpx_gt_i32_e64 s9, v27
	s_cbranch_execnz .LBB19_56
.LBB19_47:
	s_or_b32 exec_lo, exec_lo, s0
	s_delay_alu instid0(SALU_CYCLE_1)
	s_mov_b32 s0, exec_lo
	v_cmpx_gt_i32_e64 s9, v26
	s_cbranch_execnz .LBB19_57
.LBB19_48:
	s_or_b32 exec_lo, exec_lo, s0
	s_delay_alu instid0(SALU_CYCLE_1)
	s_mov_b32 s0, exec_lo
	v_cmpx_gt_i32_e64 s9, v25
	s_cbranch_execnz .LBB19_58
.LBB19_49:
	s_or_b32 exec_lo, exec_lo, s0
	v_cmp_gt_i32_e32 vcc_lo, s9, v24
	s_and_b32 exec_lo, exec_lo, vcc_lo
	s_cbranch_execz .LBB19_51
.LBB19_50:
	v_dual_mov_b32 v21, 0 :: v_dual_mul_f32 v2, s11, v7
	s_delay_alu instid0(VALU_DEP_1)
	v_add_nc_u64_e32 v[0:1], v[8:9], v[20:21]
	global_store_b32 v[0:1], v2, off offset:896
.LBB19_51:
	s_endpgm
.LBB19_52:
	v_dual_mov_b32 v21, 0 :: v_dual_mul_f32 v0, s11, v0
	s_delay_alu instid0(VALU_DEP_1) | instskip(SKIP_3) | instid1(SALU_CYCLE_1)
	v_add_nc_u64_e32 v[10:11], v[8:9], v[20:21]
	global_store_b32 v[10:11], v0, off
	s_wait_xcnt 0x0
	s_or_b32 exec_lo, exec_lo, s0
	s_mov_b32 s0, exec_lo
	v_cmpx_gt_i32_e64 s9, v30
	s_cbranch_execz .LBB19_44
.LBB19_53:
	v_dual_mov_b32 v21, 0 :: v_dual_mul_f32 v0, s11, v1
	s_delay_alu instid0(VALU_DEP_1) | instskip(SKIP_3) | instid1(SALU_CYCLE_1)
	v_add_nc_u64_e32 v[10:11], v[8:9], v[20:21]
	global_store_b32 v[10:11], v0, off offset:128
	s_wait_xcnt 0x0
	s_or_b32 exec_lo, exec_lo, s0
	s_mov_b32 s0, exec_lo
	v_cmpx_gt_i32_e64 s9, v29
	s_cbranch_execz .LBB19_45
.LBB19_54:
	v_dual_mov_b32 v21, 0 :: v_dual_mul_f32 v2, s11, v2
	s_delay_alu instid0(VALU_DEP_1) | instskip(SKIP_3) | instid1(SALU_CYCLE_1)
	v_add_nc_u64_e32 v[0:1], v[8:9], v[20:21]
	global_store_b32 v[0:1], v2, off offset:256
	s_wait_xcnt 0x0
	s_or_b32 exec_lo, exec_lo, s0
	s_mov_b32 s0, exec_lo
	v_cmpx_gt_i32_e64 s9, v28
	s_cbranch_execz .LBB19_46
.LBB19_55:
	v_dual_mov_b32 v21, 0 :: v_dual_mul_f32 v2, s11, v3
	s_delay_alu instid0(VALU_DEP_1) | instskip(SKIP_3) | instid1(SALU_CYCLE_1)
	v_add_nc_u64_e32 v[0:1], v[8:9], v[20:21]
	global_store_b32 v[0:1], v2, off offset:384
	s_wait_xcnt 0x0
	s_or_b32 exec_lo, exec_lo, s0
	s_mov_b32 s0, exec_lo
	v_cmpx_gt_i32_e64 s9, v27
	s_cbranch_execz .LBB19_47
.LBB19_56:
	v_dual_mov_b32 v21, 0 :: v_dual_mul_f32 v2, s11, v4
	s_delay_alu instid0(VALU_DEP_1) | instskip(SKIP_3) | instid1(SALU_CYCLE_1)
	v_add_nc_u64_e32 v[0:1], v[8:9], v[20:21]
	global_store_b32 v[0:1], v2, off offset:512
	s_wait_xcnt 0x0
	s_or_b32 exec_lo, exec_lo, s0
	s_mov_b32 s0, exec_lo
	v_cmpx_gt_i32_e64 s9, v26
	s_cbranch_execz .LBB19_48
.LBB19_57:
	v_dual_mov_b32 v21, 0 :: v_dual_mul_f32 v2, s11, v5
	s_delay_alu instid0(VALU_DEP_1) | instskip(SKIP_3) | instid1(SALU_CYCLE_1)
	v_add_nc_u64_e32 v[0:1], v[8:9], v[20:21]
	global_store_b32 v[0:1], v2, off offset:640
	s_wait_xcnt 0x0
	s_or_b32 exec_lo, exec_lo, s0
	s_mov_b32 s0, exec_lo
	v_cmpx_gt_i32_e64 s9, v25
	s_cbranch_execz .LBB19_49
.LBB19_58:
	v_dual_mov_b32 v21, 0 :: v_dual_mul_f32 v2, s11, v6
	s_delay_alu instid0(VALU_DEP_1)
	v_add_nc_u64_e32 v[0:1], v[8:9], v[20:21]
	global_store_b32 v[0:1], v2, off offset:768
	s_wait_xcnt 0x0
	s_or_b32 exec_lo, exec_lo, s0
	v_cmp_gt_i32_e32 vcc_lo, s9, v24
	s_and_b32 exec_lo, exec_lo, vcc_lo
	s_cbranch_execnz .LBB19_50
	s_branch .LBB19_51
	.section	.rodata,"a",@progbits
	.p2align	6, 0x0
	.amdhsa_kernel _Z13topk_moe_cudaILi256ELb0EEvPKfPfPiS2_iiff15topk_moe_config
		.amdhsa_group_segment_fixed_size 0
		.amdhsa_private_segment_fixed_size 0
		.amdhsa_kernarg_size 312
		.amdhsa_user_sgpr_count 2
		.amdhsa_user_sgpr_dispatch_ptr 0
		.amdhsa_user_sgpr_queue_ptr 0
		.amdhsa_user_sgpr_kernarg_segment_ptr 1
		.amdhsa_user_sgpr_dispatch_id 0
		.amdhsa_user_sgpr_kernarg_preload_length 0
		.amdhsa_user_sgpr_kernarg_preload_offset 0
		.amdhsa_user_sgpr_private_segment_size 0
		.amdhsa_wavefront_size32 1
		.amdhsa_uses_dynamic_stack 0
		.amdhsa_enable_private_segment 0
		.amdhsa_system_sgpr_workgroup_id_x 1
		.amdhsa_system_sgpr_workgroup_id_y 0
		.amdhsa_system_sgpr_workgroup_id_z 0
		.amdhsa_system_sgpr_workgroup_info 0
		.amdhsa_system_vgpr_workitem_id 1
		.amdhsa_next_free_vgpr 50
		.amdhsa_next_free_sgpr 17
		.amdhsa_named_barrier_count 0
		.amdhsa_reserve_vcc 1
		.amdhsa_float_round_mode_32 0
		.amdhsa_float_round_mode_16_64 0
		.amdhsa_float_denorm_mode_32 3
		.amdhsa_float_denorm_mode_16_64 3
		.amdhsa_fp16_overflow 0
		.amdhsa_memory_ordered 1
		.amdhsa_forward_progress 1
		.amdhsa_inst_pref_size 58
		.amdhsa_round_robin_scheduling 0
		.amdhsa_exception_fp_ieee_invalid_op 0
		.amdhsa_exception_fp_denorm_src 0
		.amdhsa_exception_fp_ieee_div_zero 0
		.amdhsa_exception_fp_ieee_overflow 0
		.amdhsa_exception_fp_ieee_underflow 0
		.amdhsa_exception_fp_ieee_inexact 0
		.amdhsa_exception_int_div_zero 0
	.end_amdhsa_kernel
	.section	.text._Z13topk_moe_cudaILi256ELb0EEvPKfPfPiS2_iiff15topk_moe_config,"axG",@progbits,_Z13topk_moe_cudaILi256ELb0EEvPKfPfPiS2_iiff15topk_moe_config,comdat
.Lfunc_end19:
	.size	_Z13topk_moe_cudaILi256ELb0EEvPKfPfPiS2_iiff15topk_moe_config, .Lfunc_end19-_Z13topk_moe_cudaILi256ELb0EEvPKfPfPiS2_iiff15topk_moe_config
                                        ; -- End function
	.set _Z13topk_moe_cudaILi256ELb0EEvPKfPfPiS2_iiff15topk_moe_config.num_vgpr, 50
	.set _Z13topk_moe_cudaILi256ELb0EEvPKfPfPiS2_iiff15topk_moe_config.num_agpr, 0
	.set _Z13topk_moe_cudaILi256ELb0EEvPKfPfPiS2_iiff15topk_moe_config.numbered_sgpr, 17
	.set _Z13topk_moe_cudaILi256ELb0EEvPKfPfPiS2_iiff15topk_moe_config.num_named_barrier, 0
	.set _Z13topk_moe_cudaILi256ELb0EEvPKfPfPiS2_iiff15topk_moe_config.private_seg_size, 0
	.set _Z13topk_moe_cudaILi256ELb0EEvPKfPfPiS2_iiff15topk_moe_config.uses_vcc, 1
	.set _Z13topk_moe_cudaILi256ELb0EEvPKfPfPiS2_iiff15topk_moe_config.uses_flat_scratch, 0
	.set _Z13topk_moe_cudaILi256ELb0EEvPKfPfPiS2_iiff15topk_moe_config.has_dyn_sized_stack, 0
	.set _Z13topk_moe_cudaILi256ELb0EEvPKfPfPiS2_iiff15topk_moe_config.has_recursion, 0
	.set _Z13topk_moe_cudaILi256ELb0EEvPKfPfPiS2_iiff15topk_moe_config.has_indirect_call, 0
	.section	.AMDGPU.csdata,"",@progbits
; Kernel info:
; codeLenInByte = 7308
; TotalNumSgprs: 19
; NumVgprs: 50
; ScratchSize: 0
; MemoryBound: 0
; FloatMode: 240
; IeeeMode: 1
; LDSByteSize: 0 bytes/workgroup (compile time only)
; SGPRBlocks: 0
; VGPRBlocks: 3
; NumSGPRsForWavesPerEU: 19
; NumVGPRsForWavesPerEU: 50
; NamedBarCnt: 0
; Occupancy: 16
; WaveLimiterHint : 1
; COMPUTE_PGM_RSRC2:SCRATCH_EN: 0
; COMPUTE_PGM_RSRC2:USER_SGPR: 2
; COMPUTE_PGM_RSRC2:TRAP_HANDLER: 0
; COMPUTE_PGM_RSRC2:TGID_X_EN: 1
; COMPUTE_PGM_RSRC2:TGID_Y_EN: 0
; COMPUTE_PGM_RSRC2:TGID_Z_EN: 0
; COMPUTE_PGM_RSRC2:TIDIG_COMP_CNT: 1
	.section	.text._Z13topk_moe_cudaILi512ELb0EEvPKfPfPiS2_iiff15topk_moe_config,"axG",@progbits,_Z13topk_moe_cudaILi512ELb0EEvPKfPfPiS2_iiff15topk_moe_config,comdat
	.protected	_Z13topk_moe_cudaILi512ELb0EEvPKfPfPiS2_iiff15topk_moe_config ; -- Begin function _Z13topk_moe_cudaILi512ELb0EEvPKfPfPiS2_iiff15topk_moe_config
	.globl	_Z13topk_moe_cudaILi512ELb0EEvPKfPfPiS2_iiff15topk_moe_config
	.p2align	8
	.type	_Z13topk_moe_cudaILi512ELb0EEvPKfPfPiS2_iiff15topk_moe_config,@function
_Z13topk_moe_cudaILi512ELb0EEvPKfPfPiS2_iiff15topk_moe_config: ; @_Z13topk_moe_cudaILi512ELb0EEvPKfPfPiS2_iiff15topk_moe_config
; %bb.0:
	s_clause 0x1
	s_load_u16 s2, s[0:1], 0x46
	s_load_b128 s[44:47], s[0:1], 0x20
	s_bfe_u32 s3, ttmp6, 0x4000c
	s_and_b32 s4, ttmp6, 15
	s_add_co_i32 s3, s3, 1
	v_bfe_u32 v1, v0, 10, 10
	s_mul_i32 s3, ttmp9, s3
	s_delay_alu instid0(SALU_CYCLE_1) | instskip(SKIP_1) | instid1(SALU_CYCLE_1)
	s_add_co_i32 s4, s4, s3
	s_getreg_b32 s3, hwreg(HW_REG_IB_STS2, 6, 4)
	s_cmp_eq_u32 s3, 0
	s_cselect_b32 s3, ttmp9, s4
	s_wait_kmcnt 0x0
	v_mad_u32 v54, s3, s2, v1
	s_mov_b32 s2, exec_lo
	s_delay_alu instid0(VALU_DEP_1)
	v_cmpx_gt_i32_e64 s44, v54
	s_cbranch_execz .LBB20_59
; %bb.1:
	s_clause 0x1
	s_load_b128 s[48:51], s[0:1], 0x0
	s_load_b64 s[6:7], s[0:1], 0x10
	v_dual_mov_b32 v51, 0 :: v_dual_lshlrev_b32 v2, 9, v54
	v_and_b32_e32 v55, 0x3ff, v0
	s_delay_alu instid0(VALU_DEP_1) | instskip(SKIP_1) | instid1(VALU_DEP_1)
	v_dual_ashrrev_i32 v3, 31, v2 :: v_dual_lshlrev_b32 v50, 2, v55
	s_wait_kmcnt 0x0
	v_lshl_add_u64 v[0:1], v[2:3], 2, s[48:49]
	s_delay_alu instid0(VALU_DEP_1)
	v_add_nc_u64_e32 v[4:5], v[0:1], v[50:51]
	s_clause 0x1
	global_load_u16 v0, v51, s[0:1] offset:48
	global_load_u8 v1, v51, s[0:1] offset:50
	s_clause 0xf
	global_load_b32 v18, v[4:5], off
	global_load_b32 v30, v[4:5], off offset:128
	global_load_b32 v20, v[4:5], off offset:256
	;; [unrolled: 1-line block ×12, first 2 shown]
	; meta instruction
	; meta instruction
	global_load_b32 v33, v[4:5], off offset:1664
	global_load_b32 v32, v[4:5], off offset:1792
	;; [unrolled: 1-line block ×3, first 2 shown]
	s_wait_loadcnt 0x11
	s_wait_xcnt 0x10
	v_readfirstlane_b32 s1, v0
	s_wait_loadcnt 0x10
	v_and_b32_e32 v1, 1, v1
	s_and_b32 s5, 0xffff, s1
	s_delay_alu instid0(VALU_DEP_1)
	v_cmp_eq_u32_e64 s0, 1, v1
	s_and_b32 vcc_lo, exec_lo, s0
	s_cbranch_vccnz .LBB20_7
; %bb.2:
	v_and_b32_e32 v0, 1, v0
	s_mov_b32 s1, 0
	s_delay_alu instid0(VALU_DEP_1)
	v_cmp_eq_u32_e32 vcc_lo, 0, v0
	s_cbranch_vccz .LBB20_4
; %bb.3:
	s_wait_loadcnt 0xe
	v_max3_num_f32 v0, v18, 0xff800000, v30
	v_mbcnt_lo_u32_b32 v1, -1, 0
	s_wait_loadcnt 0xc
	s_delay_alu instid0(VALU_DEP_2) | instskip(SKIP_1) | instid1(VALU_DEP_2)
	v_max3_num_f32 v0, v0, v20, v19
	s_wait_xcnt 0x0
	v_xor_b32_e32 v4, 16, v1
	v_xor_b32_e32 v5, 8, v1
	s_wait_loadcnt 0xa
	v_max3_num_f32 v0, v0, v22, v21
	s_delay_alu instid0(VALU_DEP_3) | instskip(SKIP_1) | instid1(VALU_DEP_2)
	v_cmp_gt_i32_e32 vcc_lo, 32, v4
	s_wait_loadcnt 0x8
	v_max3_num_f32 v0, v0, v24, v23
	v_cndmask_b32_e32 v4, v1, v4, vcc_lo
	v_cmp_gt_i32_e32 vcc_lo, 32, v5
	s_wait_loadcnt 0x6
	s_delay_alu instid0(VALU_DEP_3) | instskip(NEXT) | instid1(VALU_DEP_3)
	v_max3_num_f32 v0, v0, v26, v25
	v_dual_cndmask_b32 v5, v1, v5 :: v_dual_lshlrev_b32 v34, 2, v4
	s_wait_loadcnt 0x4
	s_delay_alu instid0(VALU_DEP_2) | instskip(NEXT) | instid1(VALU_DEP_2)
	v_max3_num_f32 v0, v0, v28, v27
	v_lshlrev_b32_e32 v35, 2, v5
	v_xor_b32_e32 v5, 4, v1
	s_wait_loadcnt 0x2
	s_delay_alu instid0(VALU_DEP_3) | instskip(NEXT) | instid1(VALU_DEP_2)
	v_max3_num_f32 v0, v0, v29, v33
	v_cmp_gt_i32_e32 vcc_lo, 32, v5
	s_wait_loadcnt 0x0
	s_delay_alu instid0(VALU_DEP_2) | instskip(SKIP_3) | instid1(VALU_DEP_1)
	v_max3_num_f32 v0, v0, v32, v31
	ds_bpermute_b32 v4, v34, v0
	s_wait_dscnt 0x0
	v_max_num_f32_e32 v4, v4, v4
	v_max_num_f32_e32 v0, v0, v4
	ds_bpermute_b32 v4, v35, v0
	s_wait_dscnt 0x0
	v_dual_cndmask_b32 v5, v1, v5 :: v_dual_max_num_f32 v4, v4, v4
	s_delay_alu instid0(VALU_DEP_1) | instskip(SKIP_3) | instid1(VALU_DEP_1)
	v_dual_lshlrev_b32 v36, 2, v5 :: v_dual_max_num_f32 v0, v0, v4
	ds_bpermute_b32 v4, v36, v0
	s_wait_dscnt 0x0
	v_dual_max_num_f32 v4, v4, v4 :: v_dual_bitop2_b32 v5, 2, v1 bitop3:0x14
	v_cmp_gt_i32_e32 vcc_lo, 32, v5
	s_delay_alu instid0(VALU_DEP_2) | instskip(NEXT) | instid1(VALU_DEP_1)
	v_dual_max_num_f32 v0, v0, v4 :: v_dual_cndmask_b32 v5, v1, v5
	v_lshlrev_b32_e32 v37, 2, v5
	v_xor_b32_e32 v5, 1, v1
	s_delay_alu instid0(VALU_DEP_1) | instskip(SKIP_4) | instid1(VALU_DEP_1)
	v_cmp_gt_i32_e32 vcc_lo, 32, v5
	v_cndmask_b32_e32 v1, v1, v5, vcc_lo
	ds_bpermute_b32 v4, v37, v0
	s_wait_dscnt 0x0
	v_dual_lshlrev_b32 v38, 2, v1 :: v_dual_max_num_f32 v4, v4, v4
	v_max_num_f32_e32 v0, v0, v4
	ds_bpermute_b32 v1, v38, v0
	s_wait_dscnt 0x0
	v_max_num_f32_e32 v1, v1, v1
	s_delay_alu instid0(VALU_DEP_1) | instskip(NEXT) | instid1(VALU_DEP_1)
	v_max_num_f32_e32 v0, v0, v1
	v_sub_f32_e32 v8, v22, v0
	s_delay_alu instid0(VALU_DEP_1)
	v_mul_f32_e32 v43, 0x3fb8aa3b, v8
	v_dual_sub_f32 v1, v18, v0 :: v_dual_sub_f32 v5, v20, v0
	v_dual_sub_f32 v4, v30, v0 :: v_dual_sub_f32 v7, v19, v0
	;; [unrolled: 1-line block ×7, first 2 shown]
	v_sub_f32_e32 v40, v31, v0
	v_dual_mul_f32 v0, 0x3fb8aa3b, v1 :: v_dual_mul_f32 v45, 0x3fb8aa3b, v10
	s_delay_alu instid0(VALU_DEP_3) | instskip(SKIP_1) | instid1(VALU_DEP_3)
	v_dual_mul_f32 v46, 0x3fb8aa3b, v11 :: v_dual_mul_f32 v53, 0x3fb8aa3b, v17
	v_fma_f32 v66, 0x3fb8aa3b, v8, -v43
	v_fma_f32 v58, 0x3fb8aa3b, v1, -v0
	v_rndne_f32_e32 v67, v43
	s_delay_alu instid0(VALU_DEP_4) | instskip(SKIP_2) | instid1(VALU_DEP_4)
	v_fma_f32 v72, 0x3fb8aa3b, v11, -v46
	v_rndne_f32_e32 v85, v53
	v_fmac_f32_e32 v66, 0x32a5705f, v8
	v_dual_fmac_f32 v58, 0x32a5705f, v1 :: v_dual_sub_f32 v43, v43, v67
	v_fma_f32 v84, 0x3fb8aa3b, v17, -v53
	s_delay_alu instid0(VALU_DEP_4) | instskip(SKIP_1) | instid1(VALU_DEP_4)
	v_dual_sub_f32 v53, v53, v85 :: v_dual_fmac_f32 v72, 0x32a5705f, v11
	v_dual_mul_f32 v6, 0x3fb8aa3b, v4 :: v_dual_mul_f32 v41, 0x3fb8aa3b, v5
	v_dual_add_f32 v43, v43, v66 :: v_dual_mul_f32 v42, 0x3fb8aa3b, v7
	v_mul_f32_e32 v47, 0x3fb8aa3b, v12
	v_rndne_f32_e32 v59, v0
	v_dual_mul_f32 v44, 0x3fb8aa3b, v9 :: v_dual_mul_f32 v49, 0x3fb8aa3b, v14
	s_delay_alu instid0(VALU_DEP_4)
	v_exp_f32_e32 v43, v43
	v_dual_mul_f32 v48, 0x3fb8aa3b, v13 :: v_dual_mul_f32 v51, 0x3fb8aa3b, v15
	v_fma_f32 v60, 0x3fb8aa3b, v4, -v6
	v_rndne_f32_e32 v61, v6
	v_fma_f32 v64, 0x3fb8aa3b, v7, -v42
	v_rndne_f32_e32 v65, v42
	v_sub_f32_e32 v0, v0, v59
	v_cvt_i32_f32_e32 v67, v67
	v_fma_f32 v62, 0x3fb8aa3b, v5, -v41
	v_rndne_f32_e32 v63, v41
	v_rndne_f32_e32 v69, v44
	;; [unrolled: 1-line block ×6, first 2 shown]
	v_fmac_f32_e32 v60, 0x32a5705f, v4
	v_sub_f32_e32 v6, v6, v61
	v_fmac_f32_e32 v64, 0x32a5705f, v7
	v_sub_f32_e32 v42, v42, v65
	v_ldexp_f32 v43, v43, v67
	v_add_f32_e32 v0, v0, v58
	v_dual_mul_f32 v52, 0x3fb8aa3b, v16 :: v_dual_sub_f32 v41, v41, v63
	v_fma_f32 v68, 0x3fb8aa3b, v9, -v44
	v_fma_f32 v70, 0x3fb8aa3b, v10, -v45
	v_rndne_f32_e32 v75, v47
	v_fma_f32 v76, 0x3fb8aa3b, v13, -v48
	v_fma_f32 v78, 0x3fb8aa3b, v14, -v49
	;; [unrolled: 1-line block ×3, first 2 shown]
	v_dual_fmac_f32 v62, 0x32a5705f, v5 :: v_dual_sub_f32 v45, v45, v71
	v_dual_sub_f32 v44, v44, v69 :: v_dual_add_f32 v6, v6, v60
	v_dual_sub_f32 v49, v49, v79 :: v_dual_sub_f32 v51, v51, v81
	v_dual_sub_f32 v48, v48, v77 :: v_dual_add_f32 v42, v42, v64
	v_exp_f32_e32 v0, v0
	v_cvt_i32_f32_e32 v59, v59
	v_fma_f32 v74, 0x3fb8aa3b, v12, -v47
	v_dual_sub_f32 v47, v47, v75 :: v_dual_fmac_f32 v68, 0x32a5705f, v9
	v_add_f32_e32 v41, v41, v62
	v_exp_f32_e32 v6, v6
	v_exp_f32_e32 v42, v42
	v_cvt_i32_f32_e32 v61, v61
	v_cvt_i32_f32_e32 v65, v65
	v_ldexp_f32 v0, v0, v59
	v_cmp_ngt_f32_e32 vcc_lo, 0xc2ce8ed0, v1
	v_exp_f32_e32 v41, v41
	v_cvt_i32_f32_e32 v63, v63
	v_ldexp_f32 v6, v6, v61
	v_ldexp_f32 v42, v42, v65
	v_cndmask_b32_e32 v0, 0, v0, vcc_lo
	v_cmp_ngt_f32_e32 vcc_lo, 0xc2ce8ed0, v4
	v_dual_mul_f32 v56, 0x3fb8aa3b, v39 :: v_dual_mul_f32 v57, 0x3fb8aa3b, v40
	v_fma_f32 v82, 0x3fb8aa3b, v16, -v52
	v_dual_add_f32 v44, v44, v68 :: v_dual_cndmask_b32 v6, 0, v6, vcc_lo
	v_ldexp_f32 v41, v41, v63
	v_cmp_ngt_f32_e32 vcc_lo, 0xc2ce8ed0, v5
	v_rndne_f32_e32 v89, v57
	v_fmac_f32_e32 v70, 0x32a5705f, v10
	v_fmac_f32_e32 v82, 0x32a5705f, v16
	v_fma_f32 v88, 0x3fb8aa3b, v40, -v57
	v_cndmask_b32_e32 v41, 0, v41, vcc_lo
	v_cmp_nlt_f32_e32 vcc_lo, 0x42b17218, v1
	v_dual_sub_f32 v57, v57, v89 :: v_dual_fmac_f32 v74, 0x32a5705f, v12
	v_dual_add_f32 v45, v45, v70 :: v_dual_fmac_f32 v76, 0x32a5705f, v13
	v_cndmask_b32_e32 v0, 0x7f800000, v0, vcc_lo
	v_cmp_nlt_f32_e32 vcc_lo, 0x42b17218, v4
	s_delay_alu instid0(VALU_DEP_4)
	v_add_f32_e32 v47, v47, v74
	v_rndne_f32_e32 v73, v46
	v_add_f32_e32 v48, v48, v76
	v_rndne_f32_e32 v83, v52
	v_cndmask_b32_e32 v1, 0x7f800000, v6, vcc_lo
	v_cmp_ngt_f32_e32 vcc_lo, 0xc2ce8ed0, v7
	v_exp_f32_e32 v44, v44
	v_fma_f32 v86, 0x3fb8aa3b, v39, -v56
	v_rndne_f32_e32 v87, v56
	v_dual_sub_f32 v46, v46, v73 :: v_dual_sub_f32 v52, v52, v83
	v_cndmask_b32_e32 v4, 0, v42, vcc_lo
	v_cmp_nlt_f32_e32 vcc_lo, 0x42b17218, v5
	v_dual_fmac_f32 v88, 0x32a5705f, v40 :: v_dual_add_f32 v5, v0, v1
	v_cvt_i32_f32_e32 v69, v69
	v_fmac_f32_e32 v84, 0x32a5705f, v17
	v_cndmask_b32_e32 v6, 0x7f800000, v41, vcc_lo
	v_cmp_ngt_f32_e32 vcc_lo, 0xc2ce8ed0, v8
	v_dual_sub_f32 v56, v56, v87 :: v_dual_add_f32 v46, v46, v72
	v_dual_add_f32 v57, v57, v88 :: v_dual_fmac_f32 v86, 0x32a5705f, v39
	v_dual_add_f32 v53, v53, v84 :: v_dual_cndmask_b32 v41, 0, v43, vcc_lo
	v_cmp_nlt_f32_e32 vcc_lo, 0x42b17218, v7
	v_add_f32_e32 v52, v52, v82
	v_ldexp_f32 v44, v44, v69
	v_exp_f32_e32 v45, v45
	v_cvt_i32_f32_e32 v71, v71
	v_cndmask_b32_e32 v7, 0x7f800000, v4, vcc_lo
	v_cmp_ngt_f32_e32 vcc_lo, 0xc2ce8ed0, v9
	v_dual_add_f32 v56, v56, v86 :: v_dual_add_f32 v5, v6, v5
	v_exp_f32_e32 v46, v46
	v_cvt_i32_f32_e32 v73, v73
	v_cndmask_b32_e32 v42, 0, v44, vcc_lo
	v_cmp_nlt_f32_e32 vcc_lo, 0x42b17218, v8
	v_ldexp_f32 v45, v45, v71
	v_add_f32_e32 v8, v7, v5
	v_exp_f32_e32 v47, v47
	v_ldexp_f32 v46, v46, v73
	v_cndmask_b32_e32 v4, 0x7f800000, v41, vcc_lo
	v_cmp_ngt_f32_e32 vcc_lo, 0xc2ce8ed0, v10
	v_cvt_i32_f32_e32 v75, v75
	v_fmac_f32_e32 v80, 0x32a5705f, v15
	v_fmac_f32_e32 v78, 0x32a5705f, v14
	v_exp_f32_e32 v48, v48
	v_cndmask_b32_e32 v41, 0, v45, vcc_lo
	v_cmp_nlt_f32_e32 vcc_lo, 0x42b17218, v9
	v_ldexp_f32 v47, v47, v75
	v_add_f32_e32 v9, v4, v8
	v_dual_add_f32 v51, v51, v80 :: v_dual_add_f32 v49, v49, v78
	v_cndmask_b32_e32 v5, 0x7f800000, v42, vcc_lo
	v_cmp_ngt_f32_e32 vcc_lo, 0xc2ce8ed0, v11
	v_cvt_i32_f32_e32 v77, v77
	v_cvt_i32_f32_e32 v79, v79
	v_exp_f32_e32 v49, v49
	v_exp_f32_e32 v51, v51
	v_cndmask_b32_e32 v42, 0, v46, vcc_lo
	v_cmp_nlt_f32_e32 vcc_lo, 0x42b17218, v10
	v_ldexp_f32 v48, v48, v77
	v_cvt_i32_f32_e32 v81, v81
	v_exp_f32_e32 v52, v52
	v_ldexp_f32 v49, v49, v79
	v_cndmask_b32_e32 v8, 0x7f800000, v41, vcc_lo
	v_cmp_ngt_f32_e32 vcc_lo, 0xc2ce8ed0, v12
	v_add_f32_e32 v10, v5, v9
	v_cvt_i32_f32_e32 v83, v83
	v_ldexp_f32 v51, v51, v81
	v_exp_f32_e32 v53, v53
	v_cndmask_b32_e32 v41, 0, v47, vcc_lo
	v_cmp_nlt_f32_e32 vcc_lo, 0x42b17218, v11
	v_add_f32_e32 v11, v8, v10
	v_ldexp_f32 v52, v52, v83
	v_cvt_i32_f32_e32 v85, v85
	v_exp_f32_e32 v56, v56
	v_cndmask_b32_e32 v9, 0x7f800000, v42, vcc_lo
	v_cmp_ngt_f32_e32 vcc_lo, 0xc2ce8ed0, v13
	v_cvt_i32_f32_e32 v87, v87
	v_ldexp_f32 v53, v53, v85
	v_exp_f32_e32 v57, v57
	v_cvt_i32_f32_e32 v89, v89
	v_cndmask_b32_e32 v42, 0, v48, vcc_lo
	v_cmp_nlt_f32_e32 vcc_lo, 0x42b17218, v12
	v_add_f32_e32 v12, v9, v11
	v_ldexp_f32 v56, v56, v87
	s_delay_alu instid0(TRANS32_DEP_1) | instskip(SKIP_4) | instid1(VALU_DEP_4)
	v_ldexp_f32 v57, v57, v89
	v_cndmask_b32_e32 v10, 0x7f800000, v41, vcc_lo
	v_cmp_ngt_f32_e32 vcc_lo, 0xc2ce8ed0, v14
	v_cndmask_b32_e32 v41, 0, v49, vcc_lo
	v_cmp_nlt_f32_e32 vcc_lo, 0x42b17218, v13
	v_add_f32_e32 v13, v10, v12
	v_cndmask_b32_e32 v11, 0x7f800000, v42, vcc_lo
	v_cmp_ngt_f32_e32 vcc_lo, 0xc2ce8ed0, v15
	v_cndmask_b32_e32 v42, 0, v51, vcc_lo
	v_cmp_nlt_f32_e32 vcc_lo, 0x42b17218, v14
	s_delay_alu instid0(VALU_DEP_4)
	v_add_f32_e32 v14, v11, v13
	v_cndmask_b32_e32 v12, 0x7f800000, v41, vcc_lo
	v_cmp_ngt_f32_e32 vcc_lo, 0xc2ce8ed0, v16
	v_cndmask_b32_e32 v41, 0, v52, vcc_lo
	v_cmp_nlt_f32_e32 vcc_lo, 0x42b17218, v15
	v_cndmask_b32_e32 v13, 0x7f800000, v42, vcc_lo
	v_cmp_ngt_f32_e32 vcc_lo, 0xc2ce8ed0, v17
	v_dual_add_f32 v14, v12, v14 :: v_dual_cndmask_b32 v15, 0, v53
	v_cmp_nlt_f32_e32 vcc_lo, 0x42b17218, v16
	v_cndmask_b32_e32 v16, 0x7f800000, v41, vcc_lo
	v_cmp_ngt_f32_e32 vcc_lo, 0xc2ce8ed0, v39
	s_delay_alu instid0(VALU_DEP_4) | instskip(SKIP_3) | instid1(VALU_DEP_4)
	v_dual_add_f32 v14, v13, v14 :: v_dual_cndmask_b32 v41, 0, v56
	v_cmp_nlt_f32_e32 vcc_lo, 0x42b17218, v17
	v_cndmask_b32_e32 v17, 0x7f800000, v15, vcc_lo
	v_cmp_ngt_f32_e32 vcc_lo, 0xc2ce8ed0, v40
	v_dual_add_f32 v15, v16, v14 :: v_dual_cndmask_b32 v42, 0, v57
	v_cmp_nlt_f32_e32 vcc_lo, 0x42b17218, v39
	s_delay_alu instid0(VALU_DEP_2) | instskip(SKIP_1) | instid1(VALU_DEP_2)
	v_dual_add_f32 v39, v17, v15 :: v_dual_cndmask_b32 v14, 0x7f800000, v41
	v_cmp_nlt_f32_e32 vcc_lo, 0x42b17218, v40
	v_add_f32_e32 v39, v14, v39
	v_cndmask_b32_e32 v15, 0x7f800000, v42, vcc_lo
	s_delay_alu instid0(VALU_DEP_1)
	v_add_f32_e32 v39, v15, v39
	ds_bpermute_b32 v34, v34, v39
	s_wait_dscnt 0x0
	v_add_f32_e32 v34, v39, v34
	ds_bpermute_b32 v35, v35, v34
	s_wait_dscnt 0x0
	;; [unrolled: 3-line block ×5, first 2 shown]
	v_add_f32_e32 v34, v34, v35
	s_delay_alu instid0(VALU_DEP_1) | instskip(SKIP_1) | instid1(VALU_DEP_2)
	v_div_scale_f32 v35, null, v34, v34, 1.0
	v_div_scale_f32 v38, vcc_lo, 1.0, v34, 1.0
	v_rcp_f32_e32 v36, v35
	v_nop
	s_delay_alu instid0(TRANS32_DEP_1) | instskip(NEXT) | instid1(VALU_DEP_1)
	v_fma_f32 v37, -v35, v36, 1.0
	v_fmac_f32_e32 v36, v37, v36
	s_delay_alu instid0(VALU_DEP_1) | instskip(NEXT) | instid1(VALU_DEP_1)
	v_mul_f32_e32 v37, v38, v36
	v_fma_f32 v39, -v35, v37, v38
	s_delay_alu instid0(VALU_DEP_1) | instskip(NEXT) | instid1(VALU_DEP_1)
	v_fmac_f32_e32 v37, v39, v36
	v_fma_f32 v35, -v35, v37, v38
	s_delay_alu instid0(VALU_DEP_1) | instskip(NEXT) | instid1(VALU_DEP_1)
	v_div_fmas_f32 v35, v35, v36, v37
	v_div_fixup_f32 v34, v35, v34, 1.0
	s_delay_alu instid0(VALU_DEP_1)
	v_pk_mul_f32 v[14:15], v[14:15], v[34:35] op_sel_hi:[1,0]
	v_pk_mul_f32 v[16:17], v[16:17], v[34:35] op_sel_hi:[1,0]
	v_pk_mul_f32 v[12:13], v[12:13], v[34:35] op_sel_hi:[1,0]
	v_pk_mul_f32 v[10:11], v[10:11], v[34:35] op_sel_hi:[1,0]
	v_pk_mul_f32 v[8:9], v[8:9], v[34:35] op_sel_hi:[1,0]
	v_pk_mul_f32 v[4:5], v[4:5], v[34:35] op_sel_hi:[1,0]
	v_pk_mul_f32 v[6:7], v[6:7], v[34:35] op_sel_hi:[1,0]
	v_pk_mul_f32 v[0:1], v[0:1], v[34:35] op_sel_hi:[1,0]
	s_and_not1_b32 vcc_lo, exec_lo, s1
	s_cbranch_vccz .LBB20_5
	s_branch .LBB20_6
.LBB20_4:
                                        ; implicit-def: $vgpr15
                                        ; implicit-def: $vgpr17
                                        ; implicit-def: $vgpr13
                                        ; implicit-def: $vgpr11
                                        ; implicit-def: $vgpr9
                                        ; implicit-def: $vgpr5
                                        ; implicit-def: $vgpr7
                                        ; implicit-def: $vgpr1
.LBB20_5:
	s_wait_loadcnt 0xc
	s_wait_xcnt 0x0
	v_dual_mul_f32 v0, 0xbfb8aa3b, v18 :: v_dual_mul_f32 v5, 0xbfb8aa3b, v19
	v_dual_mul_f32 v1, 0xbfb8aa3b, v30 :: v_dual_mul_f32 v4, 0xbfb8aa3b, v20
	v_cmp_nlt_f32_e32 vcc_lo, 0x42ce8ed0, v18
	s_delay_alu instid0(VALU_DEP_3) | instskip(SKIP_1) | instid1(VALU_DEP_4)
	v_rndne_f32_e32 v6, v0
	v_fma_f32 v7, 0xbfb8aa3b, v18, -v0
	v_rndne_f32_e32 v8, v1
	v_rndne_f32_e32 v10, v4
	v_fma_f32 v11, 0xbfb8aa3b, v20, -v4
	v_fma_f32 v9, 0xbfb8aa3b, v30, -v1
	s_delay_alu instid0(VALU_DEP_4) | instskip(NEXT) | instid1(VALU_DEP_3)
	v_dual_sub_f32 v0, v0, v6 :: v_dual_sub_f32 v1, v1, v8
	v_dual_sub_f32 v4, v4, v10 :: v_dual_fmac_f32 v11, 0xb2a5705f, v20
	v_fmac_f32_e32 v7, 0xb2a5705f, v18
	v_cvt_i32_f32_e32 v6, v6
	v_cvt_i32_f32_e32 v8, v8
	;; [unrolled: 1-line block ×3, first 2 shown]
	v_dual_add_f32 v4, v4, v11 :: v_dual_fmac_f32 v9, 0xb2a5705f, v30
	v_add_f32_e32 v0, v0, v7
	v_rndne_f32_e32 v7, v5
	s_wait_loadcnt 0x6
	v_mul_f32_e32 v14, 0xbfb8aa3b, v25
	v_exp_f32_e32 v4, v4
	v_exp_f32_e32 v0, v0
	s_delay_alu instid0(VALU_DEP_1) | instskip(NEXT) | instid1(TRANS32_DEP_2)
	v_rndne_f32_e32 v15, v14
	v_ldexp_f32 v4, v4, v10
	v_mul_f32_e32 v10, 0xbfb8aa3b, v21
	s_delay_alu instid0(TRANS32_DEP_1) | instskip(SKIP_2) | instid1(VALU_DEP_4)
	v_ldexp_f32 v0, v0, v6
	v_add_f32_e32 v1, v1, v9
	v_fma_f32 v9, 0xbfb8aa3b, v19, -v5
	v_rndne_f32_e32 v11, v10
	s_delay_alu instid0(VALU_DEP_4) | instskip(NEXT) | instid1(VALU_DEP_4)
	v_cndmask_b32_e32 v0, 0, v0, vcc_lo
	v_exp_f32_e32 v1, v1
	v_cmp_nlt_f32_e32 vcc_lo, 0x42ce8ed0, v30
	v_mul_f32_e32 v6, 0xbfb8aa3b, v22
	s_delay_alu instid0(TRANS32_DEP_1) | instskip(SKIP_2) | instid1(VALU_DEP_3)
	v_ldexp_f32 v1, v1, v8
	v_sub_f32_e32 v5, v5, v7
	v_cvt_i32_f32_e32 v7, v7
	v_cndmask_b32_e32 v1, 0, v1, vcc_lo
	v_cmp_ngt_f32_e32 vcc_lo, 0xc2b17218, v18
	s_wait_loadcnt 0x2
	v_mul_f32_e32 v18, 0xbfb8aa3b, v33
	v_cndmask_b32_e32 v0, 0x7f800000, v0, vcc_lo
	v_cmp_ngt_f32_e32 vcc_lo, 0xc2b17218, v30
	v_cndmask_b32_e32 v1, 0x7f800000, v1, vcc_lo
	v_cmp_nlt_f32_e32 vcc_lo, 0x42ce8ed0, v20
	v_dual_fmac_f32 v9, 0xb2a5705f, v19 :: v_dual_cndmask_b32 v4, 0, v4
	s_delay_alu instid0(VALU_DEP_1) | instskip(SKIP_1) | instid1(VALU_DEP_2)
	v_add_f32_e32 v5, v5, v9
	v_cmp_ngt_f32_e32 vcc_lo, 0xc2b17218, v20
	v_exp_f32_e32 v5, v5
	v_nop
	s_delay_alu instid0(TRANS32_DEP_1) | instskip(SKIP_3) | instid1(VALU_DEP_1)
	v_ldexp_f32 v5, v5, v7
	v_sub_f32_e32 v7, v10, v11
	v_rndne_f32_e32 v8, v6
	v_fma_f32 v9, 0xbfb8aa3b, v22, -v6
	v_dual_sub_f32 v6, v6, v8 :: v_dual_fmac_f32 v9, 0xb2a5705f, v22
	v_cvt_i32_f32_e32 v8, v8
	v_pk_add_f32 v[0:1], v[0:1], 1.0 op_sel_hi:[1,0]
	s_delay_alu instid0(VALU_DEP_3) | instskip(SKIP_1) | instid1(VALU_DEP_2)
	v_dual_add_f32 v6, v6, v9 :: v_dual_mul_f32 v9, 0xbfb8aa3b, v24
	v_fma_f32 v12, 0xbfb8aa3b, v21, -v10
	v_rndne_f32_e32 v10, v9
	s_delay_alu instid0(VALU_DEP_2) | instskip(NEXT) | instid1(VALU_DEP_1)
	v_fmac_f32_e32 v12, 0xb2a5705f, v21
	v_add_f32_e32 v7, v7, v12
	v_exp_f32_e32 v6, v6
	v_fma_f32 v12, 0xbfb8aa3b, v24, -v9
	s_delay_alu instid0(VALU_DEP_2) | instskip(NEXT) | instid1(VALU_DEP_1)
	v_exp_f32_e32 v7, v7
	v_fmac_f32_e32 v12, 0xb2a5705f, v24
	s_delay_alu instid0(TRANS32_DEP_2) | instskip(SKIP_4) | instid1(VALU_DEP_4)
	v_ldexp_f32 v6, v6, v8
	v_sub_f32_e32 v8, v9, v10
	v_cvt_i32_f32_e32 v9, v11
	v_mul_f32_e32 v11, 0xbfb8aa3b, v23
	v_cvt_i32_f32_e32 v10, v10
	v_add_f32_e32 v8, v8, v12
	s_delay_alu instid0(VALU_DEP_4) | instskip(NEXT) | instid1(VALU_DEP_4)
	v_ldexp_f32 v7, v7, v9
	v_rndne_f32_e32 v9, v11
	v_cndmask_b32_e32 v4, 0x7f800000, v4, vcc_lo
	v_cmp_nlt_f32_e32 vcc_lo, 0x42ce8ed0, v19
	v_exp_f32_e32 v8, v8
	v_fma_f32 v12, 0xbfb8aa3b, v23, -v11
	v_sub_f32_e32 v11, v11, v9
	v_cvt_i32_f32_e32 v9, v9
	v_cndmask_b32_e32 v5, 0, v5, vcc_lo
	v_cmp_ngt_f32_e32 vcc_lo, 0xc2b17218, v19
	v_rndne_f32_e32 v19, v18
	v_ldexp_f32 v8, v8, v10
	v_mul_f32_e32 v10, 0xbfb8aa3b, v26
	v_cndmask_b32_e32 v5, 0x7f800000, v5, vcc_lo
	v_cmp_nlt_f32_e32 vcc_lo, 0x42ce8ed0, v22
	s_delay_alu instid0(VALU_DEP_3) | instskip(SKIP_1) | instid1(VALU_DEP_4)
	v_fma_f32 v13, 0xbfb8aa3b, v26, -v10
	v_fmac_f32_e32 v12, 0xb2a5705f, v23
	v_pk_add_f32 v[4:5], v[4:5], 1.0 op_sel_hi:[1,0]
	v_cndmask_b32_e32 v6, 0, v6, vcc_lo
	v_cmp_ngt_f32_e32 vcc_lo, 0xc2b17218, v22
	v_fmac_f32_e32 v13, 0xb2a5705f, v26
	v_add_f32_e32 v11, v11, v12
	v_div_scale_f32 v30, null, v5, v5, 1.0
	v_cndmask_b32_e32 v6, 0x7f800000, v6, vcc_lo
	v_cmp_nlt_f32_e32 vcc_lo, 0x42ce8ed0, v21
	s_delay_alu instid0(VALU_DEP_4) | instskip(SKIP_2) | instid1(TRANS32_DEP_1)
	v_exp_f32_e32 v11, v11
	v_cndmask_b32_e32 v7, 0, v7, vcc_lo
	v_cmp_ngt_f32_e32 vcc_lo, 0xc2b17218, v21
	v_ldexp_f32 v9, v11, v9
	v_sub_f32_e32 v11, v14, v15
	v_rndne_f32_e32 v12, v10
	v_cndmask_b32_e32 v7, 0x7f800000, v7, vcc_lo
	v_cmp_nlt_f32_e32 vcc_lo, 0x42ce8ed0, v24
	s_delay_alu instid0(VALU_DEP_3) | instskip(SKIP_3) | instid1(VALU_DEP_4)
	v_sub_f32_e32 v10, v10, v12
	v_cvt_i32_f32_e32 v12, v12
	v_cndmask_b32_e32 v8, 0, v8, vcc_lo
	v_cmp_ngt_f32_e32 vcc_lo, 0xc2b17218, v24
	v_dual_add_f32 v10, v10, v13 :: v_dual_mul_f32 v13, 0xbfb8aa3b, v28
	v_fma_f32 v16, 0xbfb8aa3b, v25, -v14
	s_delay_alu instid0(VALU_DEP_2) | instskip(NEXT) | instid1(VALU_DEP_2)
	v_exp_f32_e32 v10, v10
	v_rndne_f32_e32 v14, v13
	s_delay_alu instid0(VALU_DEP_2) | instskip(NEXT) | instid1(VALU_DEP_1)
	v_fmac_f32_e32 v16, 0xb2a5705f, v25
	v_add_f32_e32 v11, v11, v16
	s_delay_alu instid0(TRANS32_DEP_1) | instskip(NEXT) | instid1(VALU_DEP_4)
	v_ldexp_f32 v10, v10, v12
	v_sub_f32_e32 v12, v13, v14
	v_fma_f32 v16, 0xbfb8aa3b, v28, -v13
	v_cvt_i32_f32_e32 v13, v15
	v_exp_f32_e32 v11, v11
	v_mul_f32_e32 v15, 0xbfb8aa3b, v27
	v_cvt_i32_f32_e32 v14, v14
	v_fmac_f32_e32 v16, 0xb2a5705f, v28
	s_delay_alu instid0(TRANS32_DEP_1) | instskip(NEXT) | instid1(VALU_DEP_4)
	v_ldexp_f32 v11, v11, v13
	v_rndne_f32_e32 v13, v15
	v_cndmask_b32_e32 v8, 0x7f800000, v8, vcc_lo
	v_cmp_nlt_f32_e32 vcc_lo, 0x42ce8ed0, v23
	v_dual_add_f32 v12, v12, v16 :: v_dual_cndmask_b32 v9, 0, v9
	v_cmp_ngt_f32_e32 vcc_lo, 0xc2b17218, v23
	s_delay_alu instid0(VALU_DEP_2) | instskip(NEXT) | instid1(VALU_DEP_2)
	v_exp_f32_e32 v12, v12
	v_cndmask_b32_e32 v9, 0x7f800000, v9, vcc_lo
	v_cmp_nlt_f32_e32 vcc_lo, 0x42ce8ed0, v26
	s_delay_alu instid0(TRANS32_DEP_1)
	v_ldexp_f32 v12, v12, v14
	v_mul_f32_e32 v14, 0xbfb8aa3b, v29
	v_fma_f32 v16, 0xbfb8aa3b, v27, -v15
	v_sub_f32_e32 v15, v15, v13
	v_cvt_i32_f32_e32 v13, v13
	v_pk_add_f32 v[8:9], v[8:9], 1.0 op_sel_hi:[1,0]
	v_fma_f32 v17, 0xbfb8aa3b, v29, -v14
	s_delay_alu instid0(VALU_DEP_1) | instskip(NEXT) | instid1(VALU_DEP_1)
	v_dual_fmac_f32 v16, 0xb2a5705f, v27 :: v_dual_fmac_f32 v17, 0xb2a5705f, v29
	v_dual_cndmask_b32 v10, 0, v10 :: v_dual_add_f32 v15, v15, v16
	v_cmp_ngt_f32_e32 vcc_lo, 0xc2b17218, v26
	v_rndne_f32_e32 v16, v14
	s_delay_alu instid0(VALU_DEP_3) | instskip(NEXT) | instid1(VALU_DEP_3)
	v_exp_f32_e32 v15, v15
	v_cndmask_b32_e32 v10, 0x7f800000, v10, vcc_lo
	v_cmp_nlt_f32_e32 vcc_lo, 0x42ce8ed0, v25
	s_delay_alu instid0(VALU_DEP_3)
	v_sub_f32_e32 v14, v14, v16
	v_cvt_i32_f32_e32 v16, v16
	v_cndmask_b32_e32 v11, 0, v11, vcc_lo
	v_cmp_ngt_f32_e32 vcc_lo, 0xc2b17218, v25
	s_wait_loadcnt 0x1
	v_dual_add_f32 v14, v14, v17 :: v_dual_mul_f32 v17, 0xbfb8aa3b, v32
	v_fma_f32 v20, 0xbfb8aa3b, v33, -v18
	v_ldexp_f32 v13, v15, v13
	v_cndmask_b32_e32 v11, 0x7f800000, v11, vcc_lo
	v_cmp_nlt_f32_e32 vcc_lo, 0x42ce8ed0, v28
	v_sub_f32_e32 v15, v18, v19
	v_rndne_f32_e32 v18, v17
	v_fma_f32 v21, 0xbfb8aa3b, v32, -v17
	v_fmac_f32_e32 v20, 0xb2a5705f, v33
	v_cndmask_b32_e32 v12, 0, v12, vcc_lo
	v_cmp_ngt_f32_e32 vcc_lo, 0xc2b17218, v28
	v_exp_f32_e32 v14, v14
	v_sub_f32_e32 v17, v17, v18
	v_fmac_f32_e32 v21, 0xb2a5705f, v32
	v_add_f32_e32 v15, v15, v20
	v_cndmask_b32_e32 v12, 0x7f800000, v12, vcc_lo
	v_cmp_nlt_f32_e32 vcc_lo, 0x42ce8ed0, v27
	s_wait_loadcnt 0x0
	v_dual_mul_f32 v20, 0xbfb8aa3b, v31 :: v_dual_add_f32 v17, v17, v21
	v_exp_f32_e32 v15, v15
	v_cvt_i32_f32_e32 v19, v19
	v_cndmask_b32_e32 v13, 0, v13, vcc_lo
	s_delay_alu instid0(VALU_DEP_3) | instskip(SKIP_4) | instid1(VALU_DEP_3)
	v_rndne_f32_e32 v22, v20
	v_fma_f32 v23, 0xbfb8aa3b, v31, -v20
	v_ldexp_f32 v14, v14, v16
	v_cmp_nlt_f32_e32 vcc_lo, 0x42ce8ed0, v29
	v_exp_f32_e32 v17, v17
	v_dual_sub_f32 v16, v20, v22 :: v_dual_fmac_f32 v23, 0xb2a5705f, v31
	v_ldexp_f32 v15, v15, v19
	v_cndmask_b32_e32 v14, 0, v14, vcc_lo
	v_cmp_nlt_f32_e32 vcc_lo, 0x42ce8ed0, v33
	v_cvt_i32_f32_e32 v18, v18
	v_div_scale_f32 v20, null, v0, v0, 1.0
	v_add_f32_e32 v16, v16, v23
	v_cvt_i32_f32_e32 v19, v22
	s_delay_alu instid0(VALU_DEP_4)
	v_ldexp_f32 v17, v17, v18
	v_cndmask_b32_e32 v15, 0, v15, vcc_lo
	v_cmp_ngt_f32_e32 vcc_lo, 0xc2b17218, v29
	v_rcp_f32_e32 v21, v20
	v_exp_f32_e32 v16, v16
	v_div_scale_f32 v22, null, v1, v1, 1.0
	v_cndmask_b32_e32 v14, 0x7f800000, v14, vcc_lo
	v_cmp_ngt_f32_e32 vcc_lo, 0xc2b17218, v33
	v_div_scale_f32 v25, null, v4, v4, 1.0
	s_delay_alu instid0(TRANS32_DEP_1)
	v_ldexp_f32 v16, v16, v19
	v_rcp_f32_e32 v23, v22
	v_cndmask_b32_e32 v15, 0x7f800000, v15, vcc_lo
	v_cmp_nlt_f32_e32 vcc_lo, 0x42ce8ed0, v32
	v_rcp_f32_e32 v28, v25
	v_pk_add_f32 v[10:11], v[10:11], 1.0 op_sel_hi:[1,0]
	v_cndmask_b32_e32 v17, 0, v17, vcc_lo
	v_cmp_nlt_f32_e32 vcc_lo, 0x42ce8ed0, v31
	v_cndmask_b32_e32 v18, 0, v16, vcc_lo
	v_cmp_ngt_f32_e32 vcc_lo, 0xc2b17218, v32
	s_delay_alu instid0(VALU_DEP_4) | instskip(SKIP_1) | instid1(VALU_DEP_4)
	v_cndmask_b32_e32 v16, 0x7f800000, v17, vcc_lo
	v_cmp_ngt_f32_e32 vcc_lo, 0xc2b17218, v31
	v_cndmask_b32_e32 v17, 0x7f800000, v18, vcc_lo
	v_cmp_ngt_f32_e32 vcc_lo, 0xc2b17218, v27
	v_div_scale_f32 v27, s1, 1.0, v1, 1.0
	s_delay_alu instid0(VALU_DEP_3) | instskip(SKIP_1) | instid1(VALU_DEP_1)
	v_pk_add_f32 v[18:19], v[16:17], 1.0 op_sel_hi:[1,0]
	v_fma_f32 v16, -v20, v21, 1.0
	v_fmac_f32_e32 v21, v16, v21
	v_fma_f32 v16, -v22, v23, 1.0
	s_delay_alu instid0(VALU_DEP_1)
	v_fmac_f32_e32 v23, v16, v23
	v_pk_add_f32 v[16:17], v[6:7], 1.0 op_sel_hi:[1,0]
	v_fma_f32 v6, -v25, v28, 1.0
	v_cndmask_b32_e32 v13, 0x7f800000, v13, vcc_lo
	v_div_scale_f32 v24, vcc_lo, 1.0, v0, 1.0
	v_rcp_f32_e32 v7, v30
	v_div_scale_f32 v32, null, v16, v16, 1.0
	s_delay_alu instid0(VALU_DEP_2) | instskip(SKIP_1) | instid1(VALU_DEP_3)
	v_dual_mul_f32 v26, v24, v21 :: v_dual_mul_f32 v31, v27, v23
	v_fmac_f32_e32 v28, v6, v28
	v_rcp_f32_e32 v34, v32
	s_delay_alu instid0(TRANS32_DEP_2) | instskip(NEXT) | instid1(VALU_DEP_3)
	v_fma_f32 v33, -v30, v7, 1.0
	v_fma_f32 v29, -v20, v26, v24
	v_div_scale_f32 v6, s2, 1.0, v4, 1.0
	v_pk_add_f32 v[12:13], v[12:13], 1.0 op_sel_hi:[1,0]
	s_delay_alu instid0(VALU_DEP_4) | instskip(NEXT) | instid1(VALU_DEP_4)
	v_fmac_f32_e32 v7, v33, v7
	v_dual_fmac_f32 v26, v29, v21 :: v_dual_fma_f32 v29, -v22, v31, v27
	v_fma_f32 v33, -v32, v34, 1.0
	v_pk_add_f32 v[14:15], v[14:15], 1.0 op_sel_hi:[1,0]
	s_delay_alu instid0(VALU_DEP_3) | instskip(SKIP_2) | instid1(VALU_DEP_3)
	v_dual_fma_f32 v20, -v20, v26, v24 :: v_dual_fmac_f32 v31, v29, v23
	v_mul_f32_e32 v24, v6, v28
	v_div_scale_f32 v29, s3, 1.0, v5, 1.0
	v_div_fmas_f32 v20, v20, v21, v26
	s_delay_alu instid0(VALU_DEP_4)
	v_dual_fma_f32 v21, -v22, v31, v27 :: v_dual_fmac_f32 v34, v33, v34
	v_div_scale_f32 v27, s4, 1.0, v16, 1.0
	s_mov_b32 vcc_lo, s1
	v_fma_f32 v22, -v25, v24, v6
	v_div_fmas_f32 v21, v21, v23, v31
	v_dual_mul_f32 v31, v27, v34 :: v_dual_mul_f32 v26, v29, v7
	v_div_scale_f32 v33, null, v17, v17, 1.0
	s_delay_alu instid0(VALU_DEP_4) | instskip(SKIP_1) | instid1(VALU_DEP_4)
	v_fmac_f32_e32 v24, v22, v28
	v_div_fixup_f32 v0, v20, v0, 1.0
	v_fma_f32 v22, -v30, v26, v29
	s_delay_alu instid0(VALU_DEP_4) | instskip(NEXT) | instid1(VALU_DEP_3)
	v_rcp_f32_e32 v23, v33
	v_dual_fma_f32 v20, -v32, v31, v27 :: v_dual_fma_f32 v6, -v25, v24, v6
	s_mov_b32 vcc_lo, s2
	s_delay_alu instid0(VALU_DEP_2) | instskip(SKIP_1) | instid1(VALU_DEP_3)
	v_fmac_f32_e32 v26, v22, v7
	v_div_scale_f32 v22, null, v8, v8, 1.0
	v_fmac_f32_e32 v31, v20, v34
	v_div_fixup_f32 v1, v21, v1, 1.0
	v_fma_f32 v21, -v33, v23, 1.0
	s_delay_alu instid0(VALU_DEP_4) | instskip(SKIP_4) | instid1(VALU_DEP_3)
	v_rcp_f32_e32 v20, v22
	v_div_fmas_f32 v6, v6, v28, v24
	v_fma_f32 v24, -v30, v26, v29
	s_mov_b32 vcc_lo, s3
	v_div_scale_f32 v29, s2, 1.0, v8, 1.0
	v_div_fixup_f32 v6, v6, v4, 1.0
	s_delay_alu instid0(VALU_DEP_3)
	v_div_fmas_f32 v7, v24, v7, v26
	v_fma_f32 v26, -v22, v20, 1.0
	v_fmac_f32_e32 v23, v21, v23
	v_div_scale_f32 v21, s1, 1.0, v17, 1.0
	s_mov_b32 vcc_lo, s4
	v_fmac_f32_e32 v20, v26, v20
	v_div_fixup_f32 v7, v7, v5, 1.0
	v_mul_f32_e32 v25, v21, v23
	v_fma_f32 v24, -v32, v31, v27
	v_div_scale_f32 v27, null, v9, v9, 1.0
	v_div_scale_f32 v30, s3, 1.0, v9, 1.0
	s_delay_alu instid0(VALU_DEP_4) | instskip(NEXT) | instid1(VALU_DEP_4)
	v_fma_f32 v28, -v33, v25, v21
	v_div_fmas_f32 v24, v24, v34, v31
	s_delay_alu instid0(VALU_DEP_4)
	v_rcp_f32_e32 v26, v27
	s_mov_b32 vcc_lo, s1
	v_div_scale_f32 v32, null, v11, v11, 1.0
	v_fmac_f32_e32 v25, v28, v23
	v_div_fixup_f32 v4, v24, v16, 1.0
	v_mul_f32_e32 v16, v29, v20
	v_div_scale_f32 v24, null, v10, v10, 1.0
	v_fma_f32 v5, -v27, v26, 1.0
	s_delay_alu instid0(VALU_DEP_3) | instskip(SKIP_1) | instid1(VALU_DEP_4)
	v_fma_f32 v28, -v22, v16, v29
	v_fma_f32 v21, -v33, v25, v21
	v_rcp_f32_e32 v31, v24
	s_delay_alu instid0(VALU_DEP_2) | instskip(NEXT) | instid1(VALU_DEP_2)
	v_dual_fmac_f32 v16, v28, v20 :: v_dual_fmac_f32 v26, v5, v26
	v_div_fmas_f32 v5, v21, v23, v25
	v_rcp_f32_e32 v25, v32
	s_delay_alu instid0(TRANS32_DEP_2) | instskip(SKIP_1) | instid1(VALU_DEP_2)
	v_fma_f32 v23, -v24, v31, 1.0
	s_mov_b32 vcc_lo, s2
	v_div_fixup_f32 v5, v5, v17, 1.0
	v_fma_f32 v17, -v22, v16, v29
	s_delay_alu instid0(VALU_DEP_3) | instskip(SKIP_2) | instid1(VALU_DEP_3)
	v_dual_mul_f32 v21, v30, v26 :: v_dual_fmac_f32 v31, v23, v31
	v_div_scale_f32 v23, s1, 1.0, v10, 1.0
	v_fma_f32 v28, -v32, v25, 1.0
	v_fma_f32 v22, -v27, v21, v30
	v_div_fmas_f32 v16, v17, v20, v16
	s_delay_alu instid0(VALU_DEP_4)
	v_mul_f32_e32 v29, v23, v31
	s_mov_b32 vcc_lo, s3
	v_fmac_f32_e32 v25, v28, v25
	v_fmac_f32_e32 v21, v22, v26
	v_div_scale_f32 v22, null, v12, v12, 1.0
	v_div_scale_f32 v28, s4, 1.0, v11, 1.0
	s_delay_alu instid0(VALU_DEP_3) | instskip(NEXT) | instid1(VALU_DEP_3)
	v_fma_f32 v17, -v27, v21, v30
	v_rcp_f32_e32 v33, v22
	v_fma_f32 v20, -v24, v29, v23
	s_delay_alu instid0(VALU_DEP_3) | instskip(SKIP_3) | instid1(TRANS32_DEP_1)
	v_mul_f32_e32 v27, v28, v25
	v_div_fixup_f32 v8, v16, v8, 1.0
	v_div_fmas_f32 v17, v17, v26, v21
	v_div_scale_f32 v21, s2, 1.0, v12, 1.0
	v_fma_f32 v30, -v22, v33, 1.0
	v_fmac_f32_e32 v29, v20, v31
	v_fma_f32 v20, -v32, v27, v28
	v_div_fixup_f32 v9, v17, v9, 1.0
	s_mov_b32 vcc_lo, s1
	v_fmac_f32_e32 v33, v30, v33
	v_div_scale_f32 v26, null, v18, v18, 1.0
	v_fmac_f32_e32 v27, v20, v25
	v_fma_f32 v16, -v24, v29, v23
	s_delay_alu instid0(VALU_DEP_4) | instskip(SKIP_1) | instid1(VALU_DEP_4)
	v_mul_f32_e32 v17, v21, v33
	v_div_scale_f32 v23, null, v13, v13, 1.0
	v_fma_f32 v20, -v32, v27, v28
	s_delay_alu instid0(VALU_DEP_4) | instskip(NEXT) | instid1(VALU_DEP_4)
	v_div_fmas_f32 v16, v16, v31, v29
	v_fma_f32 v24, -v22, v17, v21
	s_mov_b32 vcc_lo, s4
	v_div_scale_f32 v29, null, v19, v19, 1.0
	s_delay_alu instid0(VALU_DEP_3) | instskip(NEXT) | instid1(VALU_DEP_3)
	v_div_fixup_f32 v10, v16, v10, 1.0
	v_fmac_f32_e32 v17, v24, v33
	v_div_fmas_f32 v20, v20, v25, v27
	v_rcp_f32_e32 v25, v23
	v_div_scale_f32 v24, null, v14, v14, 1.0
	s_delay_alu instid0(VALU_DEP_3) | instskip(SKIP_1) | instid1(VALU_DEP_3)
	v_fma_f32 v16, -v22, v17, v21
	v_div_scale_f32 v22, null, v15, v15, 1.0
	v_rcp_f32_e32 v21, v24
	v_div_fixup_f32 v11, v20, v11, 1.0
	s_delay_alu instid0(TRANS32_DEP_2) | instskip(NEXT) | instid1(VALU_DEP_3)
	v_fma_f32 v20, -v23, v25, 1.0
	v_rcp_f32_e32 v27, v22
	s_mov_b32 vcc_lo, s2
	v_rcp_f32_e32 v34, v29
	v_div_fmas_f32 v16, v16, v33, v17
	v_div_scale_f32 v17, vcc_lo, 1.0, v13, 1.0
	v_div_scale_f32 v28, s1, 1.0, v14, 1.0
	s_delay_alu instid0(TRANS32_DEP_2) | instskip(NEXT) | instid1(VALU_DEP_4)
	v_fma_f32 v30, -v22, v27, 1.0
	v_div_fixup_f32 v12, v16, v12, 1.0
	s_delay_alu instid0(TRANS32_DEP_1) | instskip(NEXT) | instid1(VALU_DEP_3)
	v_fma_f32 v35, -v29, v34, 1.0
	v_fmac_f32_e32 v27, v30, v27
	v_div_scale_f32 v30, s2, 1.0, v15, 1.0
	v_fmac_f32_e32 v25, v20, v25
	v_fma_f32 v20, -v24, v21, 1.0
	s_delay_alu instid0(VALU_DEP_3) | instskip(SKIP_1) | instid1(VALU_DEP_3)
	v_dual_fmac_f32 v34, v35, v34 :: v_dual_mul_f32 v36, v30, v27
	v_div_scale_f32 v35, s4, 1.0, v19, 1.0
	v_fmac_f32_e32 v21, v20, v21
	v_rcp_f32_e32 v20, v26
	s_delay_alu instid0(VALU_DEP_2) | instskip(NEXT) | instid1(TRANS32_DEP_1)
	v_dual_mul_f32 v16, v17, v25 :: v_dual_mul_f32 v38, v35, v34
	v_fma_f32 v33, -v26, v20, 1.0
	s_delay_alu instid0(VALU_DEP_1) | instskip(SKIP_1) | instid1(VALU_DEP_1)
	v_fmac_f32_e32 v20, v33, v20
	v_div_scale_f32 v33, s3, 1.0, v18, 1.0
	v_mul_f32_e32 v37, v33, v20
	v_dual_fma_f32 v31, -v23, v16, v17 :: v_dual_mul_f32 v32, v28, v21
	s_delay_alu instid0(VALU_DEP_1) | instskip(NEXT) | instid1(VALU_DEP_2)
	v_fmac_f32_e32 v16, v31, v25
	v_fma_f32 v31, -v24, v32, v28
	s_delay_alu instid0(VALU_DEP_2) | instskip(NEXT) | instid1(VALU_DEP_2)
	v_fma_f32 v17, -v23, v16, v17
	v_dual_fmac_f32 v32, v31, v21 :: v_dual_fma_f32 v23, -v22, v36, v30
	s_delay_alu instid0(VALU_DEP_1) | instskip(NEXT) | instid1(VALU_DEP_3)
	v_dual_fma_f32 v31, -v26, v37, v33 :: v_dual_fmac_f32 v36, v23, v27
	v_div_fmas_f32 v16, v17, v25, v16
	s_delay_alu instid0(VALU_DEP_2) | instskip(NEXT) | instid1(VALU_DEP_4)
	v_fmac_f32_e32 v37, v31, v20
	v_dual_fma_f32 v17, -v24, v32, v28 :: v_dual_fma_f32 v23, -v29, v38, v35
	s_mov_b32 vcc_lo, s1
	s_delay_alu instid0(VALU_DEP_3) | instskip(NEXT) | instid1(VALU_DEP_2)
	v_div_fixup_f32 v13, v16, v13, 1.0
	v_div_fmas_f32 v17, v17, v21, v32
	s_delay_alu instid0(VALU_DEP_3)
	v_fmac_f32_e32 v38, v23, v34
	v_fma_f32 v21, -v22, v36, v30
	v_fma_f32 v22, -v26, v37, v33
	s_mov_b32 vcc_lo, s2
	v_div_fixup_f32 v16, v17, v14, 1.0
	v_fma_f32 v23, -v29, v38, v35
	v_div_fmas_f32 v21, v21, v27, v36
	s_mov_b32 vcc_lo, s3
	v_div_fmas_f32 v20, v22, v20, v37
	s_mov_b32 vcc_lo, s4
	s_delay_alu instid0(VALU_DEP_2) | instskip(SKIP_1) | instid1(VALU_DEP_3)
	v_div_fixup_f32 v17, v21, v15, 1.0
	v_div_fmas_f32 v22, v23, v34, v38
	v_div_fixup_f32 v14, v20, v18, 1.0
	s_delay_alu instid0(VALU_DEP_2)
	v_div_fixup_f32 v15, v22, v19, 1.0
.LBB20_6:
	s_wait_loadcnt 0xe
	v_dual_mov_b32 v18, v0 :: v_dual_mov_b32 v30, v1
	s_wait_loadcnt 0xc
	v_dual_mov_b32 v20, v6 :: v_dual_mov_b32 v19, v7
	;; [unrolled: 2-line block ×8, first 2 shown]
.LBB20_7:
	s_lshr_b32 s13, s5, 8
	s_cmp_gt_i32 s45, 0
	s_mov_b32 s1, 0
	s_cbranch_scc1 .LBB20_9
; %bb.8:
	s_bitcmp1_b32 s13, 0
	s_cselect_b32 s17, -1, 0
	s_branch .LBB20_10
.LBB20_9:
	s_mov_b32 s1, -1
                                        ; implicit-def: $sgpr17
.LBB20_10:
	v_dual_add_nc_u32 v70, 32, v55 :: v_dual_add_nc_u32 v69, 64, v55
	v_add_nc_u32_e32 v68, 0x60, v55
	v_add_nc_u32_e32 v67, 0x80, v55
	;; [unrolled: 1-line block ×13, first 2 shown]
	v_mbcnt_lo_u32_b32 v51, -1, 0
	s_and_not1_b32 vcc_lo, exec_lo, s1
	s_mov_b32 s18, 0
	s_cbranch_vccnz .LBB20_37
; %bb.11:
	s_delay_alu instid0(VALU_DEP_1)
	v_xor_b32_e32 v1, 8, v51
	s_bitcmp1_b32 s13, 0
	s_wait_loadcnt 0xf
	v_cmp_o_f32_e32 vcc_lo, v18, v18
	v_lshl_add_u64 v[52:53], v[2:3], 2, s[6:7]
	s_wait_loadcnt 0xb
	v_cmp_o_f32_e64 s1, v22, v22
	v_cmp_gt_i32_e64 s13, 32, v1
	v_xor_b32_e32 v0, 16, v51
	s_wait_loadcnt 0xa
	v_cmp_o_f32_e64 s2, v21, v21
	s_wait_loadcnt 0x9
	v_cmp_o_f32_e64 s3, v24, v24
	;; [unrolled: 2-line block ×3, first 2 shown]
	v_cndmask_b32_e64 v1, v51, v1, s13
	v_cmp_gt_i32_e64 s12, 32, v0
	v_xor_b32_e32 v3, 1, v51
	s_wait_loadcnt 0x7
	v_cmp_o_f32_e64 s5, v26, v26
	s_wait_loadcnt 0x6
	v_cmp_o_f32_e64 s6, v25, v25
	v_dual_cndmask_b32 v0, v51, v0, s12 :: v_dual_bitop2_b32 v2, 2, v51 bitop3:0x14
	v_cndmask_b32_e32 v16, 0xff7fffff, v18, vcc_lo
	v_lshlrev_b32_e32 v72, 2, v1
	v_cmp_o_f32_e32 vcc_lo, v19, v19
	s_wait_loadcnt 0x5
	v_cmp_o_f32_e64 s7, v28, v28
	v_dual_lshlrev_b32 v71, 2, v0 :: v_dual_bitop2_b32 v0, 4, v51 bitop3:0x14
	s_wait_loadcnt 0x4
	v_cmp_o_f32_e64 s8, v27, v27
	s_wait_loadcnt 0x3
	v_cmp_o_f32_e64 s9, v29, v29
	;; [unrolled: 2-line block ×4, first 2 shown]
	v_cmp_gt_i32_e64 s13, 32, v0
	s_wait_loadcnt 0x0
	v_cmp_o_f32_e64 s12, v31, v31
	v_cndmask_b32_e32 v19, 0xff7fffff, v19, vcc_lo
	v_cndmask_b32_e64 v22, 0xff7fffff, v22, s1
	v_cndmask_b32_e64 v21, 0xff7fffff, v21, s2
	;; [unrolled: 1-line block ×3, first 2 shown]
	v_cmp_gt_i32_e64 s13, 32, v2
	v_cndmask_b32_e64 v24, 0xff7fffff, v24, s3
	v_cndmask_b32_e64 v23, 0xff7fffff, v23, s4
	;; [unrolled: 1-line block ×5, first 2 shown]
	v_cmp_gt_i32_e64 s13, 32, v3
	v_dual_mov_b32 v18, 0 :: v_dual_lshlrev_b32 v73, 2, v0
	v_cndmask_b32_e64 v28, 0xff7fffff, v28, s7
	s_delay_alu instid0(VALU_DEP_3) | instskip(SKIP_1) | instid1(VALU_DEP_4)
	v_dual_lshlrev_b32 v74, 2, v2 :: v_dual_cndmask_b32 v3, v51, v3, s13
	v_cmp_o_f32_e64 s13, v30, v30
	v_dual_mov_b32 v0, 0 :: v_dual_mov_b32 v1, v18
	s_delay_alu instid0(VALU_DEP_3) | instskip(NEXT) | instid1(VALU_DEP_3)
	v_dual_mov_b32 v2, v18 :: v_dual_lshlrev_b32 v75, 2, v3
	v_cndmask_b32_e64 v17, 0xff7fffff, v30, s13
	v_cmp_o_f32_e64 s13, v20, v20
	v_dual_mov_b32 v3, v18 :: v_dual_mov_b32 v4, v18
	v_dual_mov_b32 v5, v18 :: v_dual_mov_b32 v6, v18
	;; [unrolled: 1-line block ×6, first 2 shown]
	v_mov_b32_e32 v15, v18
	v_cndmask_b32_e64 v20, 0xff7fffff, v20, s13
	v_cndmask_b32_e64 v27, 0xff7fffff, v27, s8
	;; [unrolled: 1-line block ×6, first 2 shown]
	s_cselect_b32 s17, -1, 0
	s_branch .LBB20_13
.LBB20_12:                              ;   in Loop: Header=BB20_13 Depth=1
	s_wait_xcnt 0x0
	s_or_b32 exec_lo, exec_lo, s1
	s_wait_dscnt 0x0
	v_mov_b64_e32 v[48:49], v[14:15]
	v_mov_b64_e32 v[34:35], v[0:1]
	s_and_b32 s1, s18, 31
	s_lshr_b32 m0, s18, 5
	v_cmp_eq_u32_e32 vcc_lo, s1, v55
	v_add_nc_u64_e32 v[52:53], 4, v[52:53]
	v_mov_b64_e32 v[46:47], v[12:13]
	v_mov_b64_e32 v[44:45], v[10:11]
	;; [unrolled: 1-line block ×6, first 2 shown]
	v_movreld_b32_e32 v34, v33
	v_dual_cndmask_b32 v15, v15, v49 :: v_dual_cndmask_b32 v14, v14, v48
	v_dual_cndmask_b32 v13, v13, v47 :: v_dual_cndmask_b32 v12, v12, v46
	;; [unrolled: 1-line block ×8, first 2 shown]
	s_add_co_i32 s18, s18, 1
	s_delay_alu instid0(SALU_CYCLE_1)
	s_cmp_eq_u32 s45, s18
	s_cbranch_scc1 .LBB20_38
.LBB20_13:                              ; =>This Inner Loop Header: Depth=1
	v_cmp_gt_f32_e32 vcc_lo, v17, v16
	s_mov_b32 s3, exec_lo
	v_dual_cndmask_b32 v33, v16, v17 :: v_dual_cndmask_b32 v34, v55, v70
	s_delay_alu instid0(VALU_DEP_1) | instskip(NEXT) | instid1(VALU_DEP_1)
	v_cmp_gt_f32_e64 s1, v20, v33
	v_dual_cndmask_b32 v33, v33, v20, s1 :: v_dual_cndmask_b32 v34, v34, v69, s1
	s_delay_alu instid0(VALU_DEP_1) | instskip(NEXT) | instid1(VALU_DEP_2)
	v_cmp_gt_f32_e32 vcc_lo, v19, v33
	v_dual_cndmask_b32 v33, v33, v19 :: v_dual_cndmask_b32 v34, v34, v68
	s_delay_alu instid0(VALU_DEP_1) | instskip(NEXT) | instid1(VALU_DEP_2)
	v_cmp_gt_f32_e32 vcc_lo, v22, v33
	v_dual_cndmask_b32 v33, v33, v22 :: v_dual_cndmask_b32 v34, v34, v67
	;; [unrolled: 3-line block ×13, first 2 shown]
	ds_bpermute_b32 v35, v71, v33
	ds_bpermute_b32 v36, v71, v34
	s_wait_dscnt 0x1
	v_cmp_lt_f32_e64 s2, v33, v35
	v_cmpx_nlt_f32_e32 v33, v35
	s_cbranch_execz .LBB20_15
; %bb.14:                               ;   in Loop: Header=BB20_13 Depth=1
	v_cmp_eq_f32_e32 vcc_lo, v33, v35
	s_wait_dscnt 0x0
	v_cmp_lt_i32_e64 s1, v36, v34
	s_and_not1_b32 s2, s2, exec_lo
	s_and_b32 s1, vcc_lo, s1
	s_delay_alu instid0(SALU_CYCLE_1) | instskip(NEXT) | instid1(SALU_CYCLE_1)
	s_and_b32 s1, s1, exec_lo
	s_or_b32 s2, s2, s1
.LBB20_15:                              ;   in Loop: Header=BB20_13 Depth=1
	s_or_b32 exec_lo, exec_lo, s3
	s_and_saveexec_b32 s1, s2
	s_cbranch_execz .LBB20_17
; %bb.16:                               ;   in Loop: Header=BB20_13 Depth=1
	s_wait_dscnt 0x0
	v_dual_mov_b32 v33, v35 :: v_dual_mov_b32 v34, v36
.LBB20_17:                              ;   in Loop: Header=BB20_13 Depth=1
	s_or_b32 exec_lo, exec_lo, s1
	s_wait_dscnt 0x0
	ds_bpermute_b32 v36, v72, v33
	ds_bpermute_b32 v35, v72, v34
	s_mov_b32 s3, exec_lo
	s_wait_dscnt 0x1
	v_cmp_lt_f32_e64 s2, v33, v36
	v_cmpx_nlt_f32_e32 v33, v36
	s_cbranch_execz .LBB20_19
; %bb.18:                               ;   in Loop: Header=BB20_13 Depth=1
	v_cmp_eq_f32_e32 vcc_lo, v33, v36
	s_wait_dscnt 0x0
	v_cmp_lt_i32_e64 s1, v35, v34
	s_and_not1_b32 s2, s2, exec_lo
	s_and_b32 s1, vcc_lo, s1
	s_delay_alu instid0(SALU_CYCLE_1) | instskip(NEXT) | instid1(SALU_CYCLE_1)
	s_and_b32 s1, s1, exec_lo
	s_or_b32 s2, s2, s1
.LBB20_19:                              ;   in Loop: Header=BB20_13 Depth=1
	s_or_b32 exec_lo, exec_lo, s3
	s_and_saveexec_b32 s1, s2
	s_cbranch_execz .LBB20_21
; %bb.20:                               ;   in Loop: Header=BB20_13 Depth=1
	s_wait_dscnt 0x0
	v_dual_mov_b32 v33, v36 :: v_dual_mov_b32 v34, v35
.LBB20_21:                              ;   in Loop: Header=BB20_13 Depth=1
	s_or_b32 exec_lo, exec_lo, s1
	ds_bpermute_b32 v36, v73, v33
	s_wait_dscnt 0x1
	ds_bpermute_b32 v35, v73, v34
	s_mov_b32 s3, exec_lo
	s_wait_dscnt 0x1
	v_cmp_lt_f32_e64 s2, v33, v36
	v_cmpx_nlt_f32_e32 v33, v36
	s_cbranch_execz .LBB20_23
; %bb.22:                               ;   in Loop: Header=BB20_13 Depth=1
	v_cmp_eq_f32_e32 vcc_lo, v33, v36
	s_wait_dscnt 0x0
	v_cmp_lt_i32_e64 s1, v35, v34
	s_and_not1_b32 s2, s2, exec_lo
	s_and_b32 s1, vcc_lo, s1
	s_delay_alu instid0(SALU_CYCLE_1) | instskip(NEXT) | instid1(SALU_CYCLE_1)
	s_and_b32 s1, s1, exec_lo
	s_or_b32 s2, s2, s1
.LBB20_23:                              ;   in Loop: Header=BB20_13 Depth=1
	s_or_b32 exec_lo, exec_lo, s3
	s_and_saveexec_b32 s1, s2
	s_cbranch_execz .LBB20_25
; %bb.24:                               ;   in Loop: Header=BB20_13 Depth=1
	s_wait_dscnt 0x0
	v_dual_mov_b32 v33, v36 :: v_dual_mov_b32 v34, v35
.LBB20_25:                              ;   in Loop: Header=BB20_13 Depth=1
	s_or_b32 exec_lo, exec_lo, s1
	ds_bpermute_b32 v36, v74, v33
	s_wait_dscnt 0x1
	ds_bpermute_b32 v35, v74, v34
	s_mov_b32 s3, exec_lo
	s_wait_dscnt 0x1
	v_cmp_lt_f32_e64 s2, v33, v36
	v_cmpx_nlt_f32_e32 v33, v36
	s_cbranch_execz .LBB20_27
; %bb.26:                               ;   in Loop: Header=BB20_13 Depth=1
	v_cmp_eq_f32_e32 vcc_lo, v33, v36
	s_wait_dscnt 0x0
	v_cmp_lt_i32_e64 s1, v35, v34
	s_and_not1_b32 s2, s2, exec_lo
	s_and_b32 s1, vcc_lo, s1
	s_delay_alu instid0(SALU_CYCLE_1) | instskip(NEXT) | instid1(SALU_CYCLE_1)
	s_and_b32 s1, s1, exec_lo
	s_or_b32 s2, s2, s1
.LBB20_27:                              ;   in Loop: Header=BB20_13 Depth=1
	s_or_b32 exec_lo, exec_lo, s3
	s_and_saveexec_b32 s1, s2
	s_cbranch_execz .LBB20_29
; %bb.28:                               ;   in Loop: Header=BB20_13 Depth=1
	s_wait_dscnt 0x0
	v_dual_mov_b32 v33, v36 :: v_dual_mov_b32 v34, v35
.LBB20_29:                              ;   in Loop: Header=BB20_13 Depth=1
	s_or_b32 exec_lo, exec_lo, s1
	s_wait_dscnt 0x0
	ds_bpermute_b32 v35, v75, v33
	ds_bpermute_b32 v36, v75, v34
	s_mov_b32 s3, exec_lo
	s_wait_dscnt 0x1
	v_cmp_lt_f32_e64 s2, v33, v35
	v_cmpx_nlt_f32_e32 v33, v35
	s_cbranch_execz .LBB20_31
; %bb.30:                               ;   in Loop: Header=BB20_13 Depth=1
	v_cmp_eq_f32_e32 vcc_lo, v33, v35
	s_wait_dscnt 0x0
	v_cmp_lt_i32_e64 s1, v36, v34
	s_and_not1_b32 s2, s2, exec_lo
	s_and_b32 s1, vcc_lo, s1
	s_delay_alu instid0(SALU_CYCLE_1) | instskip(NEXT) | instid1(SALU_CYCLE_1)
	s_and_b32 s1, s1, exec_lo
	s_or_b32 s2, s2, s1
.LBB20_31:                              ;   in Loop: Header=BB20_13 Depth=1
	s_or_b32 exec_lo, exec_lo, s3
	s_and_saveexec_b32 s1, s2
	s_cbranch_execz .LBB20_33
; %bb.32:                               ;   in Loop: Header=BB20_13 Depth=1
	s_wait_dscnt 0x0
	v_dual_mov_b32 v33, v35 :: v_dual_mov_b32 v34, v36
.LBB20_33:                              ;   in Loop: Header=BB20_13 Depth=1
	s_or_b32 exec_lo, exec_lo, s1
	s_delay_alu instid0(VALU_DEP_1) | instskip(NEXT) | instid1(VALU_DEP_1)
	v_and_b32_e32 v35, 31, v34
	v_cmp_eq_u32_e32 vcc_lo, v35, v55
	s_and_saveexec_b32 s19, vcc_lo
	s_cbranch_execz .LBB20_35
; %bb.34:                               ;   in Loop: Header=BB20_13 Depth=1
	v_ashrrev_i32_e32 v35, 31, v34
	s_delay_alu instid0(VALU_DEP_1) | instskip(NEXT) | instid1(VALU_DEP_1)
	v_lshrrev_b32_e32 v35, 27, v35
	v_add_nc_u32_e32 v35, v34, v35
	s_delay_alu instid0(VALU_DEP_1) | instskip(NEXT) | instid1(VALU_DEP_1)
	v_ashrrev_i32_e32 v35, 5, v35
	v_cmp_ne_u32_e64 s1, 14, v35
	v_cmp_ne_u32_e64 s2, 13, v35
	;; [unrolled: 1-line block ×16, first 2 shown]
	v_cndmask_b32_e64 v32, 0xff800000, v32, s1
	v_cndmask_b32_e64 v29, 0xff800000, v29, s2
	v_cndmask_b32_e64 v30, 0xff800000, v30, s3
	v_cndmask_b32_e64 v27, 0xff800000, v27, s4
	v_cndmask_b32_e64 v31, 0xff800000, v31, s16
	v_cndmask_b32_e64 v28, 0xff800000, v28, s5
	v_cndmask_b32_e64 v25, 0xff800000, v25, s6
	v_cndmask_b32_e64 v26, 0xff800000, v26, s7
	v_cndmask_b32_e64 v23, 0xff800000, v23, s8
	v_cndmask_b32_e64 v24, 0xff800000, v24, s9
	v_cndmask_b32_e64 v21, 0xff800000, v21, s10
	v_cndmask_b32_e64 v22, 0xff800000, v22, s11
	v_cndmask_b32_e64 v19, 0xff800000, v19, s12
	v_cndmask_b32_e64 v20, 0xff800000, v20, s13
	v_cndmask_b32_e64 v17, 0xff800000, v17, s14
	v_cndmask_b32_e64 v16, 0xff800000, v16, s15
.LBB20_35:                              ;   in Loop: Header=BB20_13 Depth=1
	s_or_b32 exec_lo, exec_lo, s19
	s_and_saveexec_b32 s1, vcc_lo
	s_cbranch_execz .LBB20_12
; %bb.36:                               ;   in Loop: Header=BB20_13 Depth=1
	v_add_f32_e32 v35, v18, v33
	global_store_b32 v[52:53], v34, off
	v_cndmask_b32_e64 v18, v18, v35, s17
	s_branch .LBB20_12
.LBB20_37:
	s_wait_loadcnt 0xf
	v_mov_b32_e32 v18, 0
	s_wait_loadcnt 0xc
	s_delay_alu instid0(VALU_DEP_1)
	v_dual_mov_b32 v19, v18 :: v_dual_mov_b32 v20, v18
	s_wait_loadcnt 0xa
	v_dual_mov_b32 v21, v18 :: v_dual_mov_b32 v22, v18
	s_wait_loadcnt 0x8
	;; [unrolled: 2-line block ×6, first 2 shown]
	v_dual_mov_b32 v31, v18 :: v_dual_mov_b32 v32, v18
	v_mov_b32_e32 v33, v18
	v_mov_b64_e32 v[0:1], v[18:19]
	v_mov_b64_e32 v[2:3], v[20:21]
	v_mov_b64_e32 v[4:5], v[22:23]
	v_mov_b64_e32 v[6:7], v[24:25]
	v_mov_b64_e32 v[8:9], v[26:27]
	v_mov_b64_e32 v[10:11], v[28:29]
	v_mov_b64_e32 v[12:13], v[30:31]
	v_mov_b64_e32 v[14:15], v[32:33]
.LBB20_38:
	s_and_b32 vcc_lo, exec_lo, s17
	s_cbranch_vccz .LBB20_40
; %bb.39:
	v_xor_b32_e32 v17, 8, v51
	v_xor_b32_e32 v16, 16, v51
	s_delay_alu instid0(VALU_DEP_1) | instskip(SKIP_1) | instid1(VALU_DEP_4)
	v_cmp_gt_i32_e32 vcc_lo, 32, v16
	v_cndmask_b32_e32 v16, v51, v16, vcc_lo
	v_cmp_gt_i32_e32 vcc_lo, 32, v17
	v_cndmask_b32_e32 v17, v51, v17, vcc_lo
	s_delay_alu instid0(VALU_DEP_1)
	v_dual_lshlrev_b32 v17, 2, v17 :: v_dual_lshlrev_b32 v16, 2, v16
	ds_bpermute_b32 v16, v16, v18
	s_wait_dscnt 0x0
	v_dual_add_f32 v16, v18, v16 :: v_dual_bitop2_b32 v18, 4, v51 bitop3:0x14
	ds_bpermute_b32 v17, v17, v16
	v_cmp_gt_i32_e32 vcc_lo, 32, v18
	s_wait_dscnt 0x0
	v_dual_cndmask_b32 v18, v51, v18, vcc_lo :: v_dual_add_f32 v16, v16, v17
	s_delay_alu instid0(VALU_DEP_1) | instskip(SKIP_3) | instid1(VALU_DEP_1)
	v_lshlrev_b32_e32 v18, 2, v18
	ds_bpermute_b32 v17, v18, v16
	s_wait_dscnt 0x0
	v_dual_add_f32 v16, v16, v17 :: v_dual_bitop2_b32 v18, 2, v51 bitop3:0x14
	v_cmp_gt_i32_e32 vcc_lo, 32, v18
	v_cndmask_b32_e32 v18, v51, v18, vcc_lo
	s_delay_alu instid0(VALU_DEP_1) | instskip(SKIP_2) | instid1(VALU_DEP_1)
	v_lshlrev_b32_e32 v18, 2, v18
	ds_bpermute_b32 v17, v18, v16
	v_xor_b32_e32 v18, 1, v51
	v_cmp_gt_i32_e32 vcc_lo, 32, v18
	v_cndmask_b32_e32 v18, v51, v18, vcc_lo
	s_wait_dscnt 0x0
	s_delay_alu instid0(VALU_DEP_1) | instskip(SKIP_4) | instid1(VALU_DEP_1)
	v_dual_lshlrev_b32 v18, 2, v18 :: v_dual_add_f32 v16, v16, v17
	ds_bpermute_b32 v17, v18, v16
	v_max_num_f32_e64 v18, s46, s46
	s_wait_dscnt 0x0
	v_add_f32_e32 v16, v16, v17
	v_max_num_f32_e32 v16, v16, v18
	s_delay_alu instid0(VALU_DEP_1) | instskip(NEXT) | instid1(VALU_DEP_1)
	v_div_scale_f32 v17, null, v16, v16, 1.0
	v_rcp_f32_e32 v18, v17
	v_nop
	s_delay_alu instid0(TRANS32_DEP_1) | instskip(NEXT) | instid1(VALU_DEP_1)
	v_fma_f32 v19, -v17, v18, 1.0
	v_fmac_f32_e32 v18, v19, v18
	v_div_scale_f32 v20, vcc_lo, 1.0, v16, 1.0
	s_delay_alu instid0(VALU_DEP_1) | instskip(NEXT) | instid1(VALU_DEP_1)
	v_mul_f32_e32 v19, v20, v18
	v_fma_f32 v21, -v17, v19, v20
	s_delay_alu instid0(VALU_DEP_1) | instskip(NEXT) | instid1(VALU_DEP_1)
	v_fmac_f32_e32 v19, v21, v18
	v_fma_f32 v17, -v17, v19, v20
	s_delay_alu instid0(VALU_DEP_1) | instskip(NEXT) | instid1(VALU_DEP_1)
	v_div_fmas_f32 v17, v17, v18, v19
	v_div_fixup_f32 v16, v17, v16, 1.0
	s_delay_alu instid0(VALU_DEP_1)
	v_pk_mul_f32 v[14:15], v[16:17], v[14:15] op_sel_hi:[0,1]
	v_pk_mul_f32 v[12:13], v[16:17], v[12:13] op_sel_hi:[0,1]
	;; [unrolled: 1-line block ×8, first 2 shown]
.LBB20_40:
	v_cmp_gt_i32_e64 s1, s45, v70
	v_cmp_gt_i32_e64 s2, s45, v69
	;; [unrolled: 1-line block ×16, first 2 shown]
	s_and_not1_b32 vcc_lo, exec_lo, s0
	s_cbranch_vccnz .LBB20_42
; %bb.41:
	v_dual_max_num_f32 v16, v0, v0 :: v_dual_max_num_f32 v17, v1, v1
	v_dual_max_num_f32 v18, v2, v2 :: v_dual_bitop2_b32 v20, 4, v51 bitop3:0x14
	v_xor_b32_e32 v22, 1, v51
	s_delay_alu instid0(VALU_DEP_3) | instskip(NEXT) | instid1(VALU_DEP_1)
	v_max_num_f32_e32 v16, 0xff800000, v16
	v_cndmask_b32_e64 v16, 0xff800000, v16, s16
	s_delay_alu instid0(VALU_DEP_1) | instskip(NEXT) | instid1(VALU_DEP_1)
	v_max_num_f32_e32 v17, v16, v17
	v_cndmask_b32_e64 v16, v16, v17, s1
	s_delay_alu instid0(VALU_DEP_1) | instskip(NEXT) | instid1(VALU_DEP_1)
	v_dual_max_num_f32 v17, v16, v18 :: v_dual_max_num_f32 v18, v3, v3
	v_cndmask_b32_e64 v16, v16, v17, s2
	s_delay_alu instid0(VALU_DEP_1) | instskip(SKIP_1) | instid1(VALU_DEP_2)
	v_max_num_f32_e32 v17, v16, v18
	v_max_num_f32_e32 v18, v4, v4
	v_cndmask_b32_e64 v16, v16, v17, s3
	s_delay_alu instid0(VALU_DEP_1) | instskip(NEXT) | instid1(VALU_DEP_1)
	v_max_num_f32_e32 v17, v16, v18
	v_cndmask_b32_e64 v16, v16, v17, s4
	s_delay_alu instid0(VALU_DEP_1) | instskip(NEXT) | instid1(VALU_DEP_1)
	v_dual_max_num_f32 v17, v5, v5 :: v_dual_max_num_f32 v18, v16, v16
	v_max_num_f32_e32 v17, v18, v17
	s_delay_alu instid0(VALU_DEP_1) | instskip(NEXT) | instid1(VALU_DEP_1)
	v_dual_cndmask_b32 v16, v16, v17, s5 :: v_dual_max_num_f32 v17, v6, v6
	v_max_num_f32_e32 v18, v16, v16
	s_delay_alu instid0(VALU_DEP_1) | instskip(NEXT) | instid1(VALU_DEP_1)
	v_max_num_f32_e32 v17, v18, v17
	v_dual_cndmask_b32 v16, v16, v17, s6 :: v_dual_max_num_f32 v17, v7, v7
	s_delay_alu instid0(VALU_DEP_1) | instskip(NEXT) | instid1(VALU_DEP_1)
	v_max_num_f32_e32 v18, v16, v16
	v_max_num_f32_e32 v17, v18, v17
	s_delay_alu instid0(VALU_DEP_1) | instskip(SKIP_1) | instid1(VALU_DEP_2)
	v_cndmask_b32_e64 v16, v16, v17, s7
	v_max_num_f32_e32 v17, v8, v8
	v_max_num_f32_e32 v18, v16, v16
	s_delay_alu instid0(VALU_DEP_1) | instskip(NEXT) | instid1(VALU_DEP_1)
	v_max_num_f32_e32 v17, v18, v17
	v_cndmask_b32_e64 v16, v16, v17, s8
	s_delay_alu instid0(VALU_DEP_1) | instskip(NEXT) | instid1(VALU_DEP_1)
	v_dual_max_num_f32 v17, v9, v9 :: v_dual_max_num_f32 v18, v16, v16
	v_max_num_f32_e32 v17, v18, v17
	s_delay_alu instid0(VALU_DEP_1) | instskip(NEXT) | instid1(VALU_DEP_1)
	v_dual_cndmask_b32 v16, v16, v17, s9 :: v_dual_max_num_f32 v17, v10, v10
	v_max_num_f32_e32 v18, v16, v16
	s_delay_alu instid0(VALU_DEP_1) | instskip(NEXT) | instid1(VALU_DEP_1)
	v_max_num_f32_e32 v17, v18, v17
	v_dual_cndmask_b32 v16, v16, v17, s10 :: v_dual_max_num_f32 v17, v11, v11
	s_delay_alu instid0(VALU_DEP_1) | instskip(NEXT) | instid1(VALU_DEP_1)
	v_max_num_f32_e32 v18, v16, v16
	v_max_num_f32_e32 v17, v18, v17
	s_delay_alu instid0(VALU_DEP_1) | instskip(SKIP_1) | instid1(VALU_DEP_2)
	v_cndmask_b32_e64 v16, v16, v17, s11
	v_max_num_f32_e32 v17, v12, v12
	v_max_num_f32_e32 v18, v16, v16
	s_delay_alu instid0(VALU_DEP_1) | instskip(NEXT) | instid1(VALU_DEP_1)
	v_max_num_f32_e32 v17, v18, v17
	v_cndmask_b32_e64 v16, v16, v17, s12
	s_delay_alu instid0(VALU_DEP_1) | instskip(NEXT) | instid1(VALU_DEP_1)
	v_dual_max_num_f32 v17, v13, v13 :: v_dual_max_num_f32 v18, v16, v16
	v_max_num_f32_e32 v17, v18, v17
	s_delay_alu instid0(VALU_DEP_1) | instskip(NEXT) | instid1(VALU_DEP_1)
	v_dual_cndmask_b32 v16, v16, v17, s13 :: v_dual_max_num_f32 v17, v14, v14
	v_max_num_f32_e32 v18, v16, v16
	s_delay_alu instid0(VALU_DEP_1) | instskip(NEXT) | instid1(VALU_DEP_1)
	v_dual_max_num_f32 v17, v18, v17 :: v_dual_bitop2_b32 v18, 16, v51 bitop3:0x14
	v_dual_cndmask_b32 v16, v16, v17, s14 :: v_dual_max_num_f32 v17, v15, v15
	s_delay_alu instid0(VALU_DEP_2) | instskip(NEXT) | instid1(VALU_DEP_2)
	v_cmp_gt_i32_e32 vcc_lo, 32, v18
	v_dual_max_num_f32 v19, v16, v16 :: v_dual_cndmask_b32 v18, v51, v18
	s_delay_alu instid0(VALU_DEP_1) | instskip(NEXT) | instid1(VALU_DEP_1)
	v_dual_max_num_f32 v17, v19, v17 :: v_dual_bitop2_b32 v19, 8, v51 bitop3:0x14
	v_dual_lshlrev_b32 v18, 2, v18 :: v_dual_cndmask_b32 v16, v16, v17, s15
	s_delay_alu instid0(VALU_DEP_2) | instskip(SKIP_4) | instid1(VALU_DEP_2)
	v_cmp_gt_i32_e32 vcc_lo, 32, v19
	ds_bpermute_b32 v17, v18, v16
	v_dual_cndmask_b32 v19, v51, v19 :: v_dual_max_num_f32 v16, v16, v16
	v_cmp_gt_i32_e32 vcc_lo, 32, v20
	s_wait_dscnt 0x0
	v_dual_lshlrev_b32 v19, 2, v19 :: v_dual_max_num_f32 v17, v17, v17
	s_delay_alu instid0(VALU_DEP_1) | instskip(SKIP_3) | instid1(VALU_DEP_1)
	v_max_num_f32_e32 v16, v16, v17
	ds_bpermute_b32 v17, v19, v16
	s_wait_dscnt 0x0
	v_dual_cndmask_b32 v20, v51, v20 :: v_dual_max_num_f32 v17, v17, v17
	v_dual_lshlrev_b32 v20, 2, v20 :: v_dual_max_num_f32 v16, v16, v17
	ds_bpermute_b32 v17, v20, v16
	s_wait_dscnt 0x0
	v_dual_max_num_f32 v17, v17, v17 :: v_dual_bitop2_b32 v21, 2, v51 bitop3:0x14
	s_delay_alu instid0(VALU_DEP_1) | instskip(NEXT) | instid1(VALU_DEP_2)
	v_cmp_gt_i32_e32 vcc_lo, 32, v21
	v_max_num_f32_e32 v16, v16, v17
	v_cndmask_b32_e32 v21, v51, v21, vcc_lo
	v_cmp_gt_i32_e32 vcc_lo, 32, v22
	s_delay_alu instid0(VALU_DEP_2) | instskip(SKIP_3) | instid1(VALU_DEP_1)
	v_dual_cndmask_b32 v22, v51, v22 :: v_dual_lshlrev_b32 v21, 2, v21
	ds_bpermute_b32 v17, v21, v16
	s_wait_dscnt 0x0
	v_dual_max_num_f32 v17, v17, v17 :: v_dual_lshlrev_b32 v22, 2, v22
	v_max_num_f32_e32 v16, v16, v17
	ds_bpermute_b32 v17, v22, v16
	s_wait_dscnt 0x0
	v_max_num_f32_e32 v17, v17, v17
	s_delay_alu instid0(VALU_DEP_1) | instskip(NEXT) | instid1(VALU_DEP_1)
	v_max_num_f32_e32 v16, v16, v17
	v_sub_f32_e32 v2, v2, v16
	s_delay_alu instid0(VALU_DEP_1)
	v_dual_mul_f32 v23, 0x3fb8aa3b, v2 :: v_dual_sub_f32 v0, v0, v16
	v_dual_sub_f32 v1, v1, v16 :: v_dual_sub_f32 v3, v3, v16
	v_dual_sub_f32 v4, v4, v16 :: v_dual_sub_f32 v5, v5, v16
	;; [unrolled: 1-line block ×7, first 2 shown]
	v_mul_f32_e32 v24, 0x3fb8aa3b, v3
	v_dual_mul_f32 v16, 0x3fb8aa3b, v0 :: v_dual_mul_f32 v17, 0x3fb8aa3b, v1
	v_cmp_ngt_f32_e32 vcc_lo, 0xc2ce8ed0, v0
	v_cmp_nlt_f32_e64 s17, 0x42b17218, v0
	v_cmp_ngt_f32_e64 s0, 0xc2ce8ed0, v1
	s_delay_alu instid0(VALU_DEP_4) | instskip(SKIP_4) | instid1(VALU_DEP_4)
	v_fma_f32 v37, 0x3fb8aa3b, v0, -v16
	v_rndne_f32_e32 v38, v16
	v_fma_f32 v39, 0x3fb8aa3b, v1, -v17
	v_rndne_f32_e32 v40, v17
	v_cmp_nlt_f32_e64 s18, 0x42b17218, v1
	v_dual_fmac_f32 v37, 0x32a5705f, v0 :: v_dual_sub_f32 v0, v16, v38
	v_rndne_f32_e32 v42, v23
	v_fmac_f32_e32 v39, 0x32a5705f, v1
	v_sub_f32_e32 v1, v17, v40
	v_cvt_i32_f32_e32 v38, v38
	v_add_f32_e32 v0, v0, v37
	v_fma_f32 v41, 0x3fb8aa3b, v2, -v23
	v_cmp_ngt_f32_e64 s19, 0xc2ce8ed0, v2
	v_cmp_nlt_f32_e64 s20, 0x42b17218, v2
	v_dual_mul_f32 v25, 0x3fb8aa3b, v4 :: v_dual_mul_f32 v26, 0x3fb8aa3b, v5
	v_exp_f32_e32 v0, v0
	v_fma_f32 v43, 0x3fb8aa3b, v3, -v24
	v_rndne_f32_e32 v44, v24
	v_cmp_ngt_f32_e64 s21, 0xc2ce8ed0, v3
	v_cmp_nlt_f32_e64 s22, 0x42b17218, v3
	v_rndne_f32_e32 v46, v25
	v_fmac_f32_e32 v43, 0x32a5705f, v3
	v_ldexp_f32 v0, v0, v38
	v_fmac_f32_e32 v41, 0x32a5705f, v2
	v_sub_f32_e32 v2, v23, v42
	v_dual_mul_f32 v27, 0x3fb8aa3b, v6 :: v_dual_mul_f32 v28, 0x3fb8aa3b, v7
	s_delay_alu instid0(VALU_DEP_4) | instskip(NEXT) | instid1(VALU_DEP_3)
	v_dual_cndmask_b32 v0, 0, v0 :: v_dual_add_f32 v1, v1, v39
	v_add_f32_e32 v2, v2, v41
	v_cvt_i32_f32_e32 v39, v40
	v_fma_f32 v47, 0x3fb8aa3b, v5, -v26
	s_delay_alu instid0(VALU_DEP_4)
	v_cndmask_b32_e64 v0, 0x7f800000, v0, s17
	v_exp_f32_e32 v1, v1
	v_exp_f32_e32 v2, v2
	v_cmp_ngt_f32_e64 s25, 0xc2ce8ed0, v5
	v_cmp_nlt_f32_e64 s26, 0x42b17218, v5
	v_rndne_f32_e32 v51, v27
	v_fmac_f32_e32 v47, 0x32a5705f, v5
	v_fma_f32 v45, 0x3fb8aa3b, v4, -v25
	v_ldexp_f32 v1, v1, v39
	v_sub_f32_e32 v3, v24, v44
	v_cvt_i32_f32_e32 v24, v42
	v_fma_f32 v49, 0x3fb8aa3b, v6, -v27
	v_cmp_ngt_f32_e64 s23, 0xc2ce8ed0, v4
	v_cndmask_b32_e64 v1, 0, v1, s0
	v_cmp_nlt_f32_e64 s24, 0x42b17218, v4
	v_ldexp_f32 v2, v2, v24
	v_cndmask_b32_e64 v0, 0, v0, s16
	v_cmp_ngt_f32_e64 s27, 0xc2ce8ed0, v6
	v_cndmask_b32_e64 v1, 0x7f800000, v1, s18
	v_cmp_nlt_f32_e64 s28, 0x42b17218, v6
	v_cndmask_b32_e64 v2, 0, v2, s19
	v_fma_f32 v52, 0x3fb8aa3b, v7, -v28
	v_fmac_f32_e32 v49, 0x32a5705f, v6
	v_add_f32_e32 v5, v1, v0
	v_cvt_i32_f32_e32 v24, v44
	v_cndmask_b32_e64 v2, 0x7f800000, v2, s20
	v_rndne_f32_e32 v48, v26
	v_cmp_ngt_f32_e64 s29, 0xc2ce8ed0, v7
	v_cndmask_b32_e64 v5, v0, v5, s1
	v_dual_fmac_f32 v45, 0x32a5705f, v4 :: v_dual_sub_f32 v4, v25, v46
	v_cmp_nlt_f32_e64 s30, 0x42b17218, v7
	v_fmac_f32_e32 v52, 0x32a5705f, v7
	s_delay_alu instid0(VALU_DEP_4) | instskip(NEXT) | instid1(VALU_DEP_4)
	v_dual_add_f32 v6, v5, v2 :: v_dual_add_f32 v3, v3, v43
	v_dual_add_f32 v4, v4, v45 :: v_dual_sub_f32 v25, v26, v48
	s_delay_alu instid0(VALU_DEP_2) | instskip(NEXT) | instid1(VALU_DEP_3)
	v_dual_sub_f32 v26, v27, v51 :: v_dual_cndmask_b32 v5, v5, v6, s2
	v_exp_f32_e32 v3, v3
	s_delay_alu instid0(VALU_DEP_2) | instskip(NEXT) | instid1(VALU_DEP_2)
	v_exp_f32_e32 v4, v4
	v_add_f32_e32 v25, v25, v47
	v_dual_mul_f32 v29, 0x3fb8aa3b, v8 :: v_dual_mul_f32 v30, 0x3fb8aa3b, v9
	v_rndne_f32_e32 v53, v28
	v_cmp_ngt_f32_e64 s31, 0xc2ce8ed0, v8
	s_delay_alu instid0(TRANS32_DEP_2)
	v_ldexp_f32 v3, v3, v24
	v_cvt_i32_f32_e32 v24, v46
	v_exp_f32_e32 v6, v25
	v_fma_f32 v71, 0x3fb8aa3b, v8, -v29
	v_cmp_nlt_f32_e64 s33, 0x42b17218, v8
	v_cndmask_b32_e64 v3, 0, v3, s21
	v_ldexp_f32 v4, v4, v24
	v_cvt_i32_f32_e32 v24, v48
	v_rndne_f32_e32 v72, v29
	v_fma_f32 v73, 0x3fb8aa3b, v9, -v30
	v_cndmask_b32_e64 v3, 0x7f800000, v3, s22
	v_cndmask_b32_e64 v4, 0, v4, s23
	v_ldexp_f32 v6, v6, v24
	v_cvt_i32_f32_e32 v24, v51
	v_fmac_f32_e32 v71, 0x32a5705f, v8
	v_dual_add_f32 v7, v5, v3 :: v_dual_add_f32 v25, v26, v49
	v_sub_f32_e32 v26, v28, v53
	v_cndmask_b32_e64 v4, 0x7f800000, v4, s24
	v_fmac_f32_e32 v73, 0x32a5705f, v9
	s_delay_alu instid0(VALU_DEP_4) | instskip(SKIP_3) | instid1(VALU_DEP_3)
	v_cndmask_b32_e64 v5, v5, v7, s3
	v_exp_f32_e32 v7, v25
	v_cndmask_b32_e64 v6, 0, v6, s25
	v_dual_mul_f32 v31, 0x3fb8aa3b, v10 :: v_dual_mul_f32 v32, 0x3fb8aa3b, v11
	v_add_f32_e32 v8, v5, v4
	v_cmp_ngt_f32_e64 s34, 0xc2ce8ed0, v9
	s_delay_alu instid0(VALU_DEP_4) | instskip(NEXT) | instid1(TRANS32_DEP_1)
	v_cndmask_b32_e64 v6, 0x7f800000, v6, s26
	v_ldexp_f32 v7, v7, v24
	v_add_f32_e32 v25, v26, v52
	v_sub_f32_e32 v26, v29, v72
	v_cndmask_b32_e64 v5, v5, v8, s4
	v_cvt_i32_f32_e32 v24, v53
	v_cndmask_b32_e64 v7, 0, v7, s27
	v_exp_f32_e32 v8, v25
	v_cmp_nlt_f32_e64 s35, 0x42b17218, v9
	v_rndne_f32_e32 v74, v30
	v_add_f32_e32 v25, v26, v71
	v_fma_f32 v75, 0x3fb8aa3b, v10, -v31
	v_cndmask_b32_e64 v7, 0x7f800000, v7, s28
	v_cmp_ngt_f32_e64 s36, 0xc2ce8ed0, v10
	v_ldexp_f32 v8, v8, v24
	v_add_f32_e32 v9, v5, v6
	v_cmp_nlt_f32_e64 s37, 0x42b17218, v10
	v_cvt_i32_f32_e32 v24, v72
	v_rndne_f32_e32 v76, v31
	v_dual_cndmask_b32 v8, 0, v8, s29 :: v_dual_sub_f32 v26, v30, v74
	v_cndmask_b32_e64 v5, v5, v9, s5
	v_exp_f32_e32 v9, v25
	v_fmac_f32_e32 v75, 0x32a5705f, v10
	v_fma_f32 v77, 0x3fb8aa3b, v11, -v32
	v_dual_add_f32 v25, v26, v73 :: v_dual_sub_f32 v26, v31, v76
	v_add_f32_e32 v10, v5, v7
	v_cndmask_b32_e64 v8, 0x7f800000, v8, s30
	s_delay_alu instid0(TRANS32_DEP_1) | instskip(SKIP_1) | instid1(VALU_DEP_4)
	v_ldexp_f32 v9, v9, v24
	v_dual_mul_f32 v33, 0x3fb8aa3b, v12 :: v_dual_mul_f32 v34, 0x3fb8aa3b, v13
	v_cndmask_b32_e64 v5, v5, v10, s6
	v_exp_f32_e32 v10, v25
	v_cmp_ngt_f32_e64 s38, 0xc2ce8ed0, v11
	v_cmp_nlt_f32_e64 s39, 0x42b17218, v11
	v_rndne_f32_e32 v78, v32
	v_cvt_i32_f32_e32 v24, v74
	v_fmac_f32_e32 v77, 0x32a5705f, v11
	v_dual_cndmask_b32 v9, 0, v9, s31 :: v_dual_add_f32 v11, v5, v8
	v_add_f32_e32 v25, v26, v75
	v_fma_f32 v79, 0x3fb8aa3b, v12, -v33
	v_ldexp_f32 v10, v10, v24
	s_delay_alu instid0(VALU_DEP_4)
	v_cndmask_b32_e64 v9, 0x7f800000, v9, s33
	v_dual_cndmask_b32 v5, v5, v11, s7 :: v_dual_sub_f32 v26, v32, v78
	v_exp_f32_e32 v11, v25
	v_cmp_ngt_f32_e64 s40, 0xc2ce8ed0, v12
	v_cmp_nlt_f32_e64 s41, 0x42b17218, v12
	v_cvt_i32_f32_e32 v24, v76
	v_cndmask_b32_e64 v10, 0, v10, s34
	v_dual_fmac_f32 v79, 0x32a5705f, v12 :: v_dual_add_f32 v12, v5, v9
	v_rndne_f32_e32 v80, v33
	v_add_f32_e32 v25, v26, v77
	v_fma_f32 v16, 0x3fb8aa3b, v13, -v34
	v_ldexp_f32 v11, v11, v24
	v_cndmask_b32_e64 v10, 0x7f800000, v10, s35
	v_cndmask_b32_e64 v5, v5, v12, s8
	v_sub_f32_e32 v26, v33, v80
	v_exp_f32_e32 v12, v25
	v_dual_mul_f32 v35, 0x3fb8aa3b, v14 :: v_dual_mul_f32 v36, 0x3fb8aa3b, v15
	v_cvt_i32_f32_e32 v24, v78
	v_cndmask_b32_e64 v11, 0, v11, s36
	v_dual_fmac_f32 v16, 0x32a5705f, v13 :: v_dual_add_f32 v25, v5, v10
	v_rndne_f32_e32 v81, v34
	v_add_f32_e32 v26, v26, v79
	v_fma_f32 v17, 0x3fb8aa3b, v14, -v35
	v_ldexp_f32 v12, v12, v24
	v_cndmask_b32_e64 v11, 0x7f800000, v11, s37
	v_cndmask_b32_e64 v5, v5, v25, s9
	v_sub_f32_e32 v27, v34, v81
	v_exp_f32_e32 v24, v26
	v_cvt_i32_f32_e32 v25, v80
	s_delay_alu instid0(VALU_DEP_3)
	v_dual_fmac_f32 v17, 0x32a5705f, v14 :: v_dual_add_f32 v26, v5, v11
	v_cndmask_b32_e64 v12, 0, v12, s38
	v_rndne_f32_e32 v37, v35
	v_add_f32_e32 v16, v27, v16
	v_fma_f32 v82, 0x3fb8aa3b, v15, -v36
	v_ldexp_f32 v24, v24, v25
	v_cndmask_b32_e64 v12, 0x7f800000, v12, s39
	v_dual_cndmask_b32 v5, v5, v26, s10 :: v_dual_sub_f32 v27, v35, v37
	s_delay_alu instid0(VALU_DEP_4) | instskip(SKIP_4) | instid1(VALU_DEP_3)
	v_fmac_f32_e32 v82, 0x32a5705f, v15
	v_exp_f32_e32 v16, v16
	v_rndne_f32_e32 v23, v36
	v_cvt_i32_f32_e32 v25, v81
	v_dual_cndmask_b32 v24, 0, v24, s40 :: v_dual_add_f32 v17, v27, v17
	v_dual_add_f32 v26, v5, v12 :: v_dual_sub_f32 v27, v36, v23
	v_cmp_ngt_f32_e64 s42, 0xc2ce8ed0, v13
	s_delay_alu instid0(TRANS32_DEP_1) | instid1(VALU_DEP_4)
	v_ldexp_f32 v16, v16, v25
	s_delay_alu instid0(VALU_DEP_4) | instskip(NEXT) | instid1(VALU_DEP_4)
	v_cndmask_b32_e64 v24, 0x7f800000, v24, s41
	v_cndmask_b32_e64 v5, v5, v26, s11
	v_exp_f32_e32 v17, v17
	v_cmp_nlt_f32_e32 vcc_lo, 0x42b17218, v13
	v_cvt_i32_f32_e32 v13, v37
	v_cndmask_b32_e64 v16, 0, v16, s42
	v_dual_add_f32 v25, v5, v24 :: v_dual_add_f32 v26, v27, v82
	v_cmp_ngt_f32_e64 s0, 0xc2ce8ed0, v14
	s_delay_alu instid0(TRANS32_DEP_1) | instid1(VALU_DEP_4)
	v_ldexp_f32 v13, v17, v13
	s_delay_alu instid0(VALU_DEP_4)
	v_cndmask_b32_e32 v16, 0x7f800000, v16, vcc_lo
	v_cmp_nlt_f32_e32 vcc_lo, 0x42b17218, v14
	v_exp_f32_e32 v17, v26
	v_cvt_i32_f32_e32 v14, v23
	v_cndmask_b32_e64 v13, 0, v13, s0
	v_cmp_ngt_f32_e64 s0, 0xc2ce8ed0, v15
	v_dual_cndmask_b32 v1, 0, v1, s1 :: v_dual_cndmask_b32 v7, 0, v7, s6
	v_cndmask_b32_e64 v8, 0, v8, s7
	s_delay_alu instid0(TRANS32_DEP_1) | instskip(SKIP_3) | instid1(VALU_DEP_3)
	v_ldexp_f32 v14, v17, v14
	v_cndmask_b32_e64 v5, v5, v25, s12
	v_dual_cndmask_b32 v9, 0, v9, s8 :: v_dual_cndmask_b32 v10, 0, v10, s9
	v_dual_cndmask_b32 v11, 0, v11, s10 :: v_dual_cndmask_b32 v12, 0, v12, s11
	v_dual_cndmask_b32 v14, 0, v14, s0 :: v_dual_add_f32 v23, v5, v16
	v_cndmask_b32_e32 v13, 0x7f800000, v13, vcc_lo
	v_cmp_nlt_f32_e32 vcc_lo, 0x42b17218, v15
	v_dual_cndmask_b32 v2, 0, v2, s2 :: v_dual_cndmask_b32 v4, 0, v4, s4
	s_delay_alu instid0(VALU_DEP_4) | instskip(NEXT) | instid1(VALU_DEP_1)
	v_dual_cndmask_b32 v5, v5, v23, s13 :: v_dual_cndmask_b32 v6, 0, v6, s5
	v_dual_cndmask_b32 v14, 0x7f800000, v14 :: v_dual_add_f32 v15, v5, v13
	s_delay_alu instid0(VALU_DEP_1) | instskip(NEXT) | instid1(VALU_DEP_1)
	v_cndmask_b32_e64 v5, v5, v15, s14
	v_add_f32_e32 v15, v5, v14
	s_delay_alu instid0(VALU_DEP_1)
	v_cndmask_b32_e64 v5, v5, v15, s15
	ds_bpermute_b32 v15, v18, v5
	s_wait_dscnt 0x0
	v_dual_add_f32 v5, v5, v15 :: v_dual_cndmask_b32 v16, 0, v16, s13
	ds_bpermute_b32 v15, v19, v5
	s_wait_dscnt 0x0
	v_add_f32_e32 v5, v5, v15
	ds_bpermute_b32 v15, v20, v5
	s_wait_dscnt 0x0
	v_add_f32_e32 v5, v5, v15
	ds_bpermute_b32 v15, v21, v5
	s_wait_dscnt 0x0
	v_add_f32_e32 v5, v5, v15
	ds_bpermute_b32 v15, v22, v5
	s_wait_dscnt 0x0
	v_add_f32_e32 v5, v5, v15
	s_delay_alu instid0(VALU_DEP_1) | instskip(SKIP_1) | instid1(VALU_DEP_2)
	v_div_scale_f32 v15, null, v5, v5, 1.0
	v_div_scale_f32 v19, vcc_lo, 1.0, v5, 1.0
	v_rcp_f32_e32 v17, v15
	v_nop
	s_delay_alu instid0(TRANS32_DEP_1) | instskip(NEXT) | instid1(VALU_DEP_1)
	v_fma_f32 v18, -v15, v17, 1.0
	v_fmac_f32_e32 v17, v18, v17
	s_delay_alu instid0(VALU_DEP_1) | instskip(NEXT) | instid1(VALU_DEP_1)
	v_mul_f32_e32 v18, v19, v17
	v_fma_f32 v20, -v15, v18, v19
	s_delay_alu instid0(VALU_DEP_1) | instskip(NEXT) | instid1(VALU_DEP_1)
	v_dual_fmac_f32 v18, v20, v17 :: v_dual_cndmask_b32 v3, 0, v3, s3
	v_fma_f32 v15, -v15, v18, v19
	s_delay_alu instid0(VALU_DEP_1) | instskip(SKIP_1) | instid1(VALU_DEP_2)
	v_div_fmas_f32 v15, v15, v17, v18
	v_dual_cndmask_b32 v17, 0, v13, s14 :: v_dual_cndmask_b32 v18, 0, v14, s15
	v_div_fixup_f32 v5, v15, v5, 1.0
	s_delay_alu instid0(VALU_DEP_1)
	v_dual_cndmask_b32 v15, 0, v24, s12 :: v_dual_mul_f32 v13, v0, v5
	v_dual_mul_f32 v14, v1, v5 :: v_dual_mul_f32 v19, v2, v5
	v_dual_mul_f32 v20, v3, v5 :: v_dual_mul_f32 v21, v4, v5
	;; [unrolled: 1-line block ×7, first 2 shown]
	v_mul_f32_e32 v32, v18, v5
	v_dual_cndmask_b32 v0, v0, v13, s16 :: v_dual_cndmask_b32 v1, v1, v14, s1
	v_dual_cndmask_b32 v2, v2, v19, s2 :: v_dual_cndmask_b32 v3, v3, v20, s3
	;; [unrolled: 1-line block ×8, first 2 shown]
.LBB20_42:
	v_mul_lo_u32 v16, v54, s45
	s_mov_b32 s0, exec_lo
	s_delay_alu instid0(VALU_DEP_1) | instskip(NEXT) | instid1(VALU_DEP_1)
	v_ashrrev_i32_e32 v17, 31, v16
	v_lshl_add_u64 v[16:17], v[16:17], 2, s[50:51]
	v_cmpx_gt_i32_e64 s45, v55
	s_cbranch_execnz .LBB20_60
; %bb.43:
	s_or_b32 exec_lo, exec_lo, s0
	s_delay_alu instid0(SALU_CYCLE_1)
	s_mov_b32 s0, exec_lo
	v_cmpx_gt_i32_e64 s45, v70
	s_cbranch_execnz .LBB20_61
.LBB20_44:
	s_or_b32 exec_lo, exec_lo, s0
	s_delay_alu instid0(SALU_CYCLE_1)
	s_mov_b32 s0, exec_lo
	v_cmpx_gt_i32_e64 s45, v69
	s_cbranch_execnz .LBB20_62
.LBB20_45:
	s_or_b32 exec_lo, exec_lo, s0
	s_delay_alu instid0(SALU_CYCLE_1)
	s_mov_b32 s0, exec_lo
	v_cmpx_gt_i32_e64 s45, v68
	s_cbranch_execnz .LBB20_63
.LBB20_46:
	s_or_b32 exec_lo, exec_lo, s0
	s_delay_alu instid0(SALU_CYCLE_1)
	s_mov_b32 s0, exec_lo
	v_cmpx_gt_i32_e64 s45, v67
	s_cbranch_execnz .LBB20_64
.LBB20_47:
	s_or_b32 exec_lo, exec_lo, s0
	s_delay_alu instid0(SALU_CYCLE_1)
	s_mov_b32 s0, exec_lo
	v_cmpx_gt_i32_e64 s45, v66
	s_cbranch_execnz .LBB20_65
.LBB20_48:
	s_or_b32 exec_lo, exec_lo, s0
	s_delay_alu instid0(SALU_CYCLE_1)
	s_mov_b32 s0, exec_lo
	v_cmpx_gt_i32_e64 s45, v65
	s_cbranch_execnz .LBB20_66
.LBB20_49:
	s_or_b32 exec_lo, exec_lo, s0
	s_delay_alu instid0(SALU_CYCLE_1)
	s_mov_b32 s0, exec_lo
	v_cmpx_gt_i32_e64 s45, v64
	s_cbranch_execnz .LBB20_67
.LBB20_50:
	s_or_b32 exec_lo, exec_lo, s0
	s_delay_alu instid0(SALU_CYCLE_1)
	s_mov_b32 s0, exec_lo
	v_cmpx_gt_i32_e64 s45, v63
	s_cbranch_execnz .LBB20_68
.LBB20_51:
	s_or_b32 exec_lo, exec_lo, s0
	s_delay_alu instid0(SALU_CYCLE_1)
	s_mov_b32 s0, exec_lo
	v_cmpx_gt_i32_e64 s45, v62
	s_cbranch_execnz .LBB20_69
.LBB20_52:
	s_or_b32 exec_lo, exec_lo, s0
	s_delay_alu instid0(SALU_CYCLE_1)
	s_mov_b32 s0, exec_lo
	v_cmpx_gt_i32_e64 s45, v61
	s_cbranch_execnz .LBB20_70
.LBB20_53:
	s_or_b32 exec_lo, exec_lo, s0
	s_delay_alu instid0(SALU_CYCLE_1)
	s_mov_b32 s0, exec_lo
	v_cmpx_gt_i32_e64 s45, v60
	s_cbranch_execnz .LBB20_71
.LBB20_54:
	s_or_b32 exec_lo, exec_lo, s0
	s_delay_alu instid0(SALU_CYCLE_1)
	s_mov_b32 s0, exec_lo
	v_cmpx_gt_i32_e64 s45, v59
	s_cbranch_execnz .LBB20_72
.LBB20_55:
	s_or_b32 exec_lo, exec_lo, s0
	s_delay_alu instid0(SALU_CYCLE_1)
	s_mov_b32 s0, exec_lo
	v_cmpx_gt_i32_e64 s45, v58
	s_cbranch_execnz .LBB20_73
.LBB20_56:
	s_or_b32 exec_lo, exec_lo, s0
	s_delay_alu instid0(SALU_CYCLE_1)
	s_mov_b32 s0, exec_lo
	v_cmpx_gt_i32_e64 s45, v57
	s_cbranch_execnz .LBB20_74
.LBB20_57:
	s_or_b32 exec_lo, exec_lo, s0
	v_cmp_gt_i32_e32 vcc_lo, s45, v56
	s_and_b32 exec_lo, exec_lo, vcc_lo
	s_cbranch_execz .LBB20_59
.LBB20_58:
	v_dual_mov_b32 v51, 0 :: v_dual_mul_f32 v2, s47, v15
	s_delay_alu instid0(VALU_DEP_1)
	v_add_nc_u64_e32 v[0:1], v[16:17], v[50:51]
	global_store_b32 v[0:1], v2, off offset:1920
.LBB20_59:
	s_sendmsg sendmsg(MSG_DEALLOC_VGPRS)
	s_endpgm
.LBB20_60:
	v_dual_mov_b32 v51, 0 :: v_dual_mul_f32 v0, s47, v0
	s_delay_alu instid0(VALU_DEP_1) | instskip(SKIP_3) | instid1(SALU_CYCLE_1)
	v_add_nc_u64_e32 v[18:19], v[16:17], v[50:51]
	global_store_b32 v[18:19], v0, off
	s_wait_xcnt 0x0
	s_or_b32 exec_lo, exec_lo, s0
	s_mov_b32 s0, exec_lo
	v_cmpx_gt_i32_e64 s45, v70
	s_cbranch_execz .LBB20_44
.LBB20_61:
	v_dual_mov_b32 v51, 0 :: v_dual_mul_f32 v0, s47, v1
	s_delay_alu instid0(VALU_DEP_1) | instskip(SKIP_3) | instid1(SALU_CYCLE_1)
	v_add_nc_u64_e32 v[18:19], v[16:17], v[50:51]
	global_store_b32 v[18:19], v0, off offset:128
	s_wait_xcnt 0x0
	s_or_b32 exec_lo, exec_lo, s0
	s_mov_b32 s0, exec_lo
	v_cmpx_gt_i32_e64 s45, v69
	s_cbranch_execz .LBB20_45
.LBB20_62:
	v_dual_mov_b32 v51, 0 :: v_dual_mul_f32 v2, s47, v2
	s_delay_alu instid0(VALU_DEP_1) | instskip(SKIP_3) | instid1(SALU_CYCLE_1)
	v_add_nc_u64_e32 v[0:1], v[16:17], v[50:51]
	global_store_b32 v[0:1], v2, off offset:256
	s_wait_xcnt 0x0
	s_or_b32 exec_lo, exec_lo, s0
	s_mov_b32 s0, exec_lo
	v_cmpx_gt_i32_e64 s45, v68
	s_cbranch_execz .LBB20_46
.LBB20_63:
	v_dual_mov_b32 v51, 0 :: v_dual_mul_f32 v2, s47, v3
	s_delay_alu instid0(VALU_DEP_1) | instskip(SKIP_3) | instid1(SALU_CYCLE_1)
	v_add_nc_u64_e32 v[0:1], v[16:17], v[50:51]
	global_store_b32 v[0:1], v2, off offset:384
	s_wait_xcnt 0x0
	s_or_b32 exec_lo, exec_lo, s0
	s_mov_b32 s0, exec_lo
	v_cmpx_gt_i32_e64 s45, v67
	s_cbranch_execz .LBB20_47
.LBB20_64:
	v_dual_mov_b32 v51, 0 :: v_dual_mul_f32 v2, s47, v4
	s_delay_alu instid0(VALU_DEP_1) | instskip(SKIP_3) | instid1(SALU_CYCLE_1)
	v_add_nc_u64_e32 v[0:1], v[16:17], v[50:51]
	global_store_b32 v[0:1], v2, off offset:512
	s_wait_xcnt 0x0
	s_or_b32 exec_lo, exec_lo, s0
	s_mov_b32 s0, exec_lo
	v_cmpx_gt_i32_e64 s45, v66
	s_cbranch_execz .LBB20_48
.LBB20_65:
	v_dual_mov_b32 v51, 0 :: v_dual_mul_f32 v2, s47, v5
	s_delay_alu instid0(VALU_DEP_1) | instskip(SKIP_3) | instid1(SALU_CYCLE_1)
	v_add_nc_u64_e32 v[0:1], v[16:17], v[50:51]
	global_store_b32 v[0:1], v2, off offset:640
	s_wait_xcnt 0x0
	s_or_b32 exec_lo, exec_lo, s0
	s_mov_b32 s0, exec_lo
	v_cmpx_gt_i32_e64 s45, v65
	s_cbranch_execz .LBB20_49
.LBB20_66:
	v_dual_mov_b32 v51, 0 :: v_dual_mul_f32 v2, s47, v6
	s_delay_alu instid0(VALU_DEP_1) | instskip(SKIP_3) | instid1(SALU_CYCLE_1)
	v_add_nc_u64_e32 v[0:1], v[16:17], v[50:51]
	global_store_b32 v[0:1], v2, off offset:768
	s_wait_xcnt 0x0
	s_or_b32 exec_lo, exec_lo, s0
	s_mov_b32 s0, exec_lo
	v_cmpx_gt_i32_e64 s45, v64
	s_cbranch_execz .LBB20_50
.LBB20_67:
	v_dual_mov_b32 v51, 0 :: v_dual_mul_f32 v2, s47, v7
	s_delay_alu instid0(VALU_DEP_1) | instskip(SKIP_3) | instid1(SALU_CYCLE_1)
	v_add_nc_u64_e32 v[0:1], v[16:17], v[50:51]
	global_store_b32 v[0:1], v2, off offset:896
	s_wait_xcnt 0x0
	s_or_b32 exec_lo, exec_lo, s0
	s_mov_b32 s0, exec_lo
	v_cmpx_gt_i32_e64 s45, v63
	s_cbranch_execz .LBB20_51
.LBB20_68:
	v_dual_mov_b32 v51, 0 :: v_dual_mul_f32 v2, s47, v8
	s_delay_alu instid0(VALU_DEP_1) | instskip(SKIP_3) | instid1(SALU_CYCLE_1)
	v_add_nc_u64_e32 v[0:1], v[16:17], v[50:51]
	global_store_b32 v[0:1], v2, off offset:1024
	s_wait_xcnt 0x0
	s_or_b32 exec_lo, exec_lo, s0
	s_mov_b32 s0, exec_lo
	v_cmpx_gt_i32_e64 s45, v62
	s_cbranch_execz .LBB20_52
.LBB20_69:
	v_dual_mov_b32 v51, 0 :: v_dual_mul_f32 v2, s47, v9
	s_delay_alu instid0(VALU_DEP_1) | instskip(SKIP_3) | instid1(SALU_CYCLE_1)
	v_add_nc_u64_e32 v[0:1], v[16:17], v[50:51]
	global_store_b32 v[0:1], v2, off offset:1152
	s_wait_xcnt 0x0
	s_or_b32 exec_lo, exec_lo, s0
	s_mov_b32 s0, exec_lo
	v_cmpx_gt_i32_e64 s45, v61
	s_cbranch_execz .LBB20_53
.LBB20_70:
	v_dual_mov_b32 v51, 0 :: v_dual_mul_f32 v2, s47, v10
	s_delay_alu instid0(VALU_DEP_1) | instskip(SKIP_3) | instid1(SALU_CYCLE_1)
	v_add_nc_u64_e32 v[0:1], v[16:17], v[50:51]
	global_store_b32 v[0:1], v2, off offset:1280
	s_wait_xcnt 0x0
	s_or_b32 exec_lo, exec_lo, s0
	s_mov_b32 s0, exec_lo
	v_cmpx_gt_i32_e64 s45, v60
	s_cbranch_execz .LBB20_54
.LBB20_71:
	v_dual_mov_b32 v51, 0 :: v_dual_mul_f32 v2, s47, v11
	s_delay_alu instid0(VALU_DEP_1) | instskip(SKIP_3) | instid1(SALU_CYCLE_1)
	v_add_nc_u64_e32 v[0:1], v[16:17], v[50:51]
	global_store_b32 v[0:1], v2, off offset:1408
	s_wait_xcnt 0x0
	s_or_b32 exec_lo, exec_lo, s0
	s_mov_b32 s0, exec_lo
	v_cmpx_gt_i32_e64 s45, v59
	s_cbranch_execz .LBB20_55
.LBB20_72:
	v_dual_mov_b32 v51, 0 :: v_dual_mul_f32 v2, s47, v12
	s_delay_alu instid0(VALU_DEP_1) | instskip(SKIP_3) | instid1(SALU_CYCLE_1)
	v_add_nc_u64_e32 v[0:1], v[16:17], v[50:51]
	global_store_b32 v[0:1], v2, off offset:1536
	s_wait_xcnt 0x0
	s_or_b32 exec_lo, exec_lo, s0
	s_mov_b32 s0, exec_lo
	v_cmpx_gt_i32_e64 s45, v58
	s_cbranch_execz .LBB20_56
.LBB20_73:
	v_dual_mov_b32 v51, 0 :: v_dual_mul_f32 v2, s47, v13
	s_delay_alu instid0(VALU_DEP_1) | instskip(SKIP_3) | instid1(SALU_CYCLE_1)
	v_add_nc_u64_e32 v[0:1], v[16:17], v[50:51]
	global_store_b32 v[0:1], v2, off offset:1664
	s_wait_xcnt 0x0
	s_or_b32 exec_lo, exec_lo, s0
	s_mov_b32 s0, exec_lo
	v_cmpx_gt_i32_e64 s45, v57
	s_cbranch_execz .LBB20_57
.LBB20_74:
	v_dual_mov_b32 v51, 0 :: v_dual_mul_f32 v2, s47, v14
	s_delay_alu instid0(VALU_DEP_1)
	v_add_nc_u64_e32 v[0:1], v[16:17], v[50:51]
	global_store_b32 v[0:1], v2, off offset:1792
	s_wait_xcnt 0x0
	s_or_b32 exec_lo, exec_lo, s0
	v_cmp_gt_i32_e32 vcc_lo, s45, v56
	s_and_b32 exec_lo, exec_lo, vcc_lo
	s_cbranch_execnz .LBB20_58
	s_branch .LBB20_59
	.section	.rodata,"a",@progbits
	.p2align	6, 0x0
	.amdhsa_kernel _Z13topk_moe_cudaILi512ELb0EEvPKfPfPiS2_iiff15topk_moe_config
		.amdhsa_group_segment_fixed_size 0
		.amdhsa_private_segment_fixed_size 0
		.amdhsa_kernarg_size 312
		.amdhsa_user_sgpr_count 2
		.amdhsa_user_sgpr_dispatch_ptr 0
		.amdhsa_user_sgpr_queue_ptr 0
		.amdhsa_user_sgpr_kernarg_segment_ptr 1
		.amdhsa_user_sgpr_dispatch_id 0
		.amdhsa_user_sgpr_kernarg_preload_length 0
		.amdhsa_user_sgpr_kernarg_preload_offset 0
		.amdhsa_user_sgpr_private_segment_size 0
		.amdhsa_wavefront_size32 1
		.amdhsa_uses_dynamic_stack 0
		.amdhsa_enable_private_segment 0
		.amdhsa_system_sgpr_workgroup_id_x 1
		.amdhsa_system_sgpr_workgroup_id_y 0
		.amdhsa_system_sgpr_workgroup_id_z 0
		.amdhsa_system_sgpr_workgroup_info 0
		.amdhsa_system_vgpr_workitem_id 1
		.amdhsa_next_free_vgpr 90
		.amdhsa_next_free_sgpr 52
		.amdhsa_named_barrier_count 0
		.amdhsa_reserve_vcc 1
		.amdhsa_float_round_mode_32 0
		.amdhsa_float_round_mode_16_64 0
		.amdhsa_float_denorm_mode_32 3
		.amdhsa_float_denorm_mode_16_64 3
		.amdhsa_fp16_overflow 0
		.amdhsa_memory_ordered 1
		.amdhsa_forward_progress 1
		.amdhsa_inst_pref_size 98
		.amdhsa_round_robin_scheduling 0
		.amdhsa_exception_fp_ieee_invalid_op 0
		.amdhsa_exception_fp_denorm_src 0
		.amdhsa_exception_fp_ieee_div_zero 0
		.amdhsa_exception_fp_ieee_overflow 0
		.amdhsa_exception_fp_ieee_underflow 0
		.amdhsa_exception_fp_ieee_inexact 0
		.amdhsa_exception_int_div_zero 0
	.end_amdhsa_kernel
	.section	.text._Z13topk_moe_cudaILi512ELb0EEvPKfPfPiS2_iiff15topk_moe_config,"axG",@progbits,_Z13topk_moe_cudaILi512ELb0EEvPKfPfPiS2_iiff15topk_moe_config,comdat
.Lfunc_end20:
	.size	_Z13topk_moe_cudaILi512ELb0EEvPKfPfPiS2_iiff15topk_moe_config, .Lfunc_end20-_Z13topk_moe_cudaILi512ELb0EEvPKfPfPiS2_iiff15topk_moe_config
                                        ; -- End function
	.set _Z13topk_moe_cudaILi512ELb0EEvPKfPfPiS2_iiff15topk_moe_config.num_vgpr, 90
	.set _Z13topk_moe_cudaILi512ELb0EEvPKfPfPiS2_iiff15topk_moe_config.num_agpr, 0
	.set _Z13topk_moe_cudaILi512ELb0EEvPKfPfPiS2_iiff15topk_moe_config.numbered_sgpr, 52
	.set _Z13topk_moe_cudaILi512ELb0EEvPKfPfPiS2_iiff15topk_moe_config.num_named_barrier, 0
	.set _Z13topk_moe_cudaILi512ELb0EEvPKfPfPiS2_iiff15topk_moe_config.private_seg_size, 0
	.set _Z13topk_moe_cudaILi512ELb0EEvPKfPfPiS2_iiff15topk_moe_config.uses_vcc, 1
	.set _Z13topk_moe_cudaILi512ELb0EEvPKfPfPiS2_iiff15topk_moe_config.uses_flat_scratch, 0
	.set _Z13topk_moe_cudaILi512ELb0EEvPKfPfPiS2_iiff15topk_moe_config.has_dyn_sized_stack, 0
	.set _Z13topk_moe_cudaILi512ELb0EEvPKfPfPiS2_iiff15topk_moe_config.has_recursion, 0
	.set _Z13topk_moe_cudaILi512ELb0EEvPKfPfPiS2_iiff15topk_moe_config.has_indirect_call, 0
	.section	.AMDGPU.csdata,"",@progbits
; Kernel info:
; codeLenInByte = 12492
; TotalNumSgprs: 54
; NumVgprs: 90
; ScratchSize: 0
; MemoryBound: 0
; FloatMode: 240
; IeeeMode: 1
; LDSByteSize: 0 bytes/workgroup (compile time only)
; SGPRBlocks: 0
; VGPRBlocks: 5
; NumSGPRsForWavesPerEU: 54
; NumVGPRsForWavesPerEU: 90
; NamedBarCnt: 0
; Occupancy: 10
; WaveLimiterHint : 1
; COMPUTE_PGM_RSRC2:SCRATCH_EN: 0
; COMPUTE_PGM_RSRC2:USER_SGPR: 2
; COMPUTE_PGM_RSRC2:TRAP_HANDLER: 0
; COMPUTE_PGM_RSRC2:TGID_X_EN: 1
; COMPUTE_PGM_RSRC2:TGID_Y_EN: 0
; COMPUTE_PGM_RSRC2:TGID_Z_EN: 0
; COMPUTE_PGM_RSRC2:TIDIG_COMP_CNT: 1
	.section	.text._Z13topk_moe_cudaILi576ELb0EEvPKfPfPiS2_iiff15topk_moe_config,"axG",@progbits,_Z13topk_moe_cudaILi576ELb0EEvPKfPfPiS2_iiff15topk_moe_config,comdat
	.protected	_Z13topk_moe_cudaILi576ELb0EEvPKfPfPiS2_iiff15topk_moe_config ; -- Begin function _Z13topk_moe_cudaILi576ELb0EEvPKfPfPiS2_iiff15topk_moe_config
	.globl	_Z13topk_moe_cudaILi576ELb0EEvPKfPfPiS2_iiff15topk_moe_config
	.p2align	8
	.type	_Z13topk_moe_cudaILi576ELb0EEvPKfPfPiS2_iiff15topk_moe_config,@function
_Z13topk_moe_cudaILi576ELb0EEvPKfPfPiS2_iiff15topk_moe_config: ; @_Z13topk_moe_cudaILi576ELb0EEvPKfPfPiS2_iiff15topk_moe_config
; %bb.0:
	s_clause 0x1
	s_load_u16 s2, s[0:1], 0x46
	s_load_b128 s[20:23], s[0:1], 0x20
	s_bfe_u32 s3, ttmp6, 0x4000c
	s_and_b32 s4, ttmp6, 15
	s_add_co_i32 s3, s3, 1
	v_bfe_u32 v1, v0, 10, 10
	s_mul_i32 s3, ttmp9, s3
	s_delay_alu instid0(SALU_CYCLE_1) | instskip(SKIP_1) | instid1(SALU_CYCLE_1)
	s_add_co_i32 s4, s4, s3
	s_getreg_b32 s3, hwreg(HW_REG_IB_STS2, 6, 4)
	s_cmp_eq_u32 s3, 0
	s_cselect_b32 s3, ttmp9, s4
	s_wait_kmcnt 0x0
	v_mad_u32 v74, s3, s2, v1
	s_mov_b32 s2, exec_lo
	s_delay_alu instid0(VALU_DEP_1)
	v_cmpx_gt_i32_e64 s20, v74
	s_cbranch_execz .LBB21_61
; %bb.1:
	s_clause 0x1
	s_load_b128 s[24:27], s[0:1], 0x0
	s_load_b64 s[6:7], s[0:1], 0x10
	v_mul_lo_u32 v2, 0x240, v74
	v_and_b32_e32 v75, 0x3ff, v0
	s_delay_alu instid0(VALU_DEP_1) | instskip(NEXT) | instid1(VALU_DEP_3)
	v_dual_mov_b32 v71, 0 :: v_dual_lshlrev_b32 v70, 2, v75
	v_ashrrev_i32_e32 v3, 31, v2
	s_wait_kmcnt 0x0
	s_delay_alu instid0(VALU_DEP_1) | instskip(NEXT) | instid1(VALU_DEP_1)
	v_lshl_add_u64 v[0:1], v[2:3], 2, s[24:25]
	v_add_nc_u64_e32 v[4:5], v[0:1], v[70:71]
	s_clause 0x1
	global_load_u16 v0, v71, s[0:1] offset:48
	global_load_u8 v1, v71, s[0:1] offset:50
	s_clause 0x11
	global_load_b32 v38, v[4:5], off
	global_load_b32 v37, v[4:5], off offset:128
	global_load_b32 v20, v[4:5], off offset:256
	;; [unrolled: 1-line block ×12, first 2 shown]
	; meta instruction
	; meta instruction
	global_load_b32 v31, v[4:5], off offset:1664
	global_load_b32 v34, v[4:5], off offset:1792
	;; [unrolled: 1-line block ×5, first 2 shown]
	s_wait_loadcnt 0x13
	s_wait_xcnt 0x12
	v_readfirstlane_b32 s1, v0
	s_wait_loadcnt 0x12
	v_and_b32_e32 v1, 1, v1
	s_and_b32 s5, 0xffff, s1
	s_delay_alu instid0(VALU_DEP_1)
	v_cmp_eq_u32_e64 s0, 1, v1
	s_and_b32 vcc_lo, exec_lo, s0
	s_cbranch_vccnz .LBB21_7
; %bb.2:
	v_and_b32_e32 v0, 1, v0
	s_mov_b32 s1, 0
	s_delay_alu instid0(VALU_DEP_1)
	v_cmp_eq_u32_e32 vcc_lo, 0, v0
	s_cbranch_vccz .LBB21_4
; %bb.3:
	s_wait_loadcnt 0x10
	v_max3_num_f32 v0, v38, 0xff800000, v37
	v_mbcnt_lo_u32_b32 v1, -1, 0
	s_wait_loadcnt 0xe
	s_delay_alu instid0(VALU_DEP_2) | instskip(SKIP_1) | instid1(VALU_DEP_2)
	v_max3_num_f32 v0, v0, v20, v21
	s_wait_xcnt 0x0
	v_xor_b32_e32 v4, 16, v1
	v_xor_b32_e32 v5, 8, v1
	s_wait_loadcnt 0xc
	v_max3_num_f32 v0, v0, v22, v23
	s_delay_alu instid0(VALU_DEP_3) | instskip(SKIP_1) | instid1(VALU_DEP_2)
	v_cmp_gt_i32_e32 vcc_lo, 32, v4
	s_wait_loadcnt 0xa
	v_max3_num_f32 v0, v0, v24, v25
	v_cndmask_b32_e32 v4, v1, v4, vcc_lo
	v_cmp_gt_i32_e32 vcc_lo, 32, v5
	s_wait_loadcnt 0x8
	s_delay_alu instid0(VALU_DEP_3) | instskip(NEXT) | instid1(VALU_DEP_3)
	v_max3_num_f32 v0, v0, v26, v27
	v_dual_cndmask_b32 v5, v1, v5 :: v_dual_lshlrev_b32 v32, 2, v4
	s_wait_loadcnt 0x6
	s_delay_alu instid0(VALU_DEP_2) | instskip(NEXT) | instid1(VALU_DEP_2)
	v_max3_num_f32 v0, v0, v28, v29
	v_lshlrev_b32_e32 v39, 2, v5
	v_xor_b32_e32 v5, 4, v1
	s_wait_loadcnt 0x4
	s_delay_alu instid0(VALU_DEP_3) | instskip(NEXT) | instid1(VALU_DEP_2)
	v_max3_num_f32 v0, v0, v30, v31
	v_cmp_gt_i32_e32 vcc_lo, 32, v5
	s_wait_loadcnt 0x2
	s_delay_alu instid0(VALU_DEP_2) | instskip(SKIP_1) | instid1(VALU_DEP_1)
	v_max3_num_f32 v0, v0, v34, v33
	s_wait_loadcnt 0x0
	v_max3_num_f32 v0, v0, v36, v35
	ds_bpermute_b32 v4, v32, v0
	s_wait_dscnt 0x0
	v_max_num_f32_e32 v4, v4, v4
	s_delay_alu instid0(VALU_DEP_1) | instskip(SKIP_3) | instid1(VALU_DEP_1)
	v_max_num_f32_e32 v0, v0, v4
	ds_bpermute_b32 v4, v39, v0
	s_wait_dscnt 0x0
	v_dual_cndmask_b32 v5, v1, v5 :: v_dual_max_num_f32 v4, v4, v4
	v_dual_lshlrev_b32 v40, 2, v5 :: v_dual_max_num_f32 v0, v0, v4
	ds_bpermute_b32 v4, v40, v0
	s_wait_dscnt 0x0
	v_dual_max_num_f32 v4, v4, v4 :: v_dual_bitop2_b32 v5, 2, v1 bitop3:0x14
	s_delay_alu instid0(VALU_DEP_1) | instskip(NEXT) | instid1(VALU_DEP_2)
	v_cmp_gt_i32_e32 vcc_lo, 32, v5
	v_dual_max_num_f32 v0, v0, v4 :: v_dual_cndmask_b32 v5, v1, v5
	s_delay_alu instid0(VALU_DEP_1) | instskip(SKIP_1) | instid1(VALU_DEP_1)
	v_lshlrev_b32_e32 v41, 2, v5
	v_xor_b32_e32 v5, 1, v1
	v_cmp_gt_i32_e32 vcc_lo, 32, v5
	v_cndmask_b32_e32 v1, v1, v5, vcc_lo
	ds_bpermute_b32 v4, v41, v0
	s_wait_dscnt 0x0
	v_dual_lshlrev_b32 v42, 2, v1 :: v_dual_max_num_f32 v4, v4, v4
	s_delay_alu instid0(VALU_DEP_1) | instskip(SKIP_3) | instid1(VALU_DEP_1)
	v_max_num_f32_e32 v0, v0, v4
	ds_bpermute_b32 v1, v42, v0
	s_wait_dscnt 0x0
	v_max_num_f32_e32 v1, v1, v1
	v_max_num_f32_e32 v0, v0, v1
	s_delay_alu instid0(VALU_DEP_1) | instskip(NEXT) | instid1(VALU_DEP_1)
	v_sub_f32_e32 v7, v22, v0
	v_mul_f32_e32 v47, 0x3fb8aa3b, v7
	v_dual_sub_f32 v1, v38, v0 :: v_dual_sub_f32 v4, v37, v0
	v_dual_sub_f32 v5, v20, v0 :: v_dual_sub_f32 v6, v21, v0
	;; [unrolled: 1-line block ×8, first 2 shown]
	v_dual_sub_f32 v43, v35, v0 :: v_dual_mul_f32 v0, 0x3fb8aa3b, v1
	v_dual_mul_f32 v51, 0x3fb8aa3b, v11 :: v_dual_mul_f32 v44, 0x3fb8aa3b, v4
	v_dual_mul_f32 v45, 0x3fb8aa3b, v5 :: v_dual_mul_f32 v48, 0x3fb8aa3b, v8
	;; [unrolled: 1-line block ×4, first 2 shown]
	v_mul_f32_e32 v59, 0x3fb8aa3b, v19
	v_fma_f32 v61, 0x3fb8aa3b, v1, -v0
	v_rndne_f32_e32 v62, v0
	v_dual_mul_f32 v46, 0x3fb8aa3b, v6 :: v_dual_mul_f32 v49, 0x3fb8aa3b, v9
	v_fma_f32 v63, 0x3fb8aa3b, v4, -v44
	v_rndne_f32_e32 v64, v44
	v_fma_f32 v69, 0x3fb8aa3b, v7, -v47
	v_rndne_f32_e32 v71, v47
	v_mul_f32_e32 v58, 0x3fb8aa3b, v18
	v_fma_f32 v72, 0x3fb8aa3b, v8, -v48
	v_rndne_f32_e32 v73, v48
	v_fma_f32 v80, 0x3fb8aa3b, v11, -v51
	v_rndne_f32_e32 v87, v54
	v_fma_f32 v88, 0x3fb8aa3b, v15, -v55
	v_rndne_f32_e32 v89, v55
	v_dual_fmac_f32 v61, 0x32a5705f, v1 :: v_dual_sub_f32 v0, v0, v62
	v_dual_mul_f32 v52, 0x3fb8aa3b, v12 :: v_dual_mul_f32 v57, 0x3fb8aa3b, v17
	v_fma_f32 v76, 0x3fb8aa3b, v9, -v49
	v_rndne_f32_e32 v77, v49
	v_fma_f32 v78, 0x3fb8aa3b, v10, -v50
	v_rndne_f32_e32 v81, v51
	;; [unrolled: 2-line block ×3, first 2 shown]
	v_fma_f32 v86, 0x3fb8aa3b, v14, -v54
	v_dual_fmac_f32 v63, 0x32a5705f, v4 :: v_dual_sub_f32 v48, v48, v73
	s_delay_alu instid0(VALU_DEP_4)
	v_dual_sub_f32 v44, v44, v64 :: v_dual_fmac_f32 v65, 0x32a5705f, v5
	v_dual_fmac_f32 v69, 0x32a5705f, v7 :: v_dual_fmac_f32 v72, 0x32a5705f, v8
	v_sub_f32_e32 v47, v47, v71
	v_fma_f32 v94, 0x3fb8aa3b, v18, -v58
	v_rndne_f32_e32 v95, v58
	v_dual_fmac_f32 v80, 0x32a5705f, v11 :: v_dual_sub_f32 v55, v55, v89
	v_dual_sub_f32 v54, v54, v87 :: v_dual_add_f32 v0, v0, v61
	v_dual_fmac_f32 v88, 0x32a5705f, v15 :: v_dual_add_f32 v47, v47, v69
	v_dual_mul_f32 v60, 0x3fb8aa3b, v43 :: v_dual_sub_f32 v49, v49, v77
	v_rndne_f32_e32 v79, v50
	v_fma_f32 v82, 0x3fb8aa3b, v12, -v52
	v_fma_f32 v84, 0x3fb8aa3b, v13, -v53
	v_rndne_f32_e32 v85, v53
	v_fma_f32 v92, 0x3fb8aa3b, v17, -v57
	v_rndne_f32_e32 v93, v57
	v_dual_fmac_f32 v78, 0x32a5705f, v10 :: v_dual_sub_f32 v51, v51, v81
	v_fmac_f32_e32 v76, 0x32a5705f, v9
	v_dual_mul_f32 v56, 0x3fb8aa3b, v16 :: v_dual_sub_f32 v45, v45, v66
	v_dual_fmac_f32 v94, 0x32a5705f, v18 :: v_dual_add_f32 v55, v55, v88
	v_dual_sub_f32 v58, v58, v95 :: v_dual_add_f32 v48, v48, v72
	v_add_f32_e32 v44, v44, v63
	v_exp_f32_e32 v0, v0
	v_rndne_f32_e32 v83, v52
	v_fma_f32 v96, 0x3fb8aa3b, v19, -v59
	v_rndne_f32_e32 v97, v59
	v_fma_f32 v98, 0x3fb8aa3b, v43, -v60
	v_rndne_f32_e32 v99, v60
	v_dual_sub_f32 v50, v50, v79 :: v_dual_sub_f32 v53, v53, v85
	v_dual_fmac_f32 v82, 0x32a5705f, v12 :: v_dual_sub_f32 v57, v57, v93
	v_cvt_i32_f32_e32 v62, v62
	v_dual_add_f32 v51, v51, v80 :: v_dual_fmac_f32 v84, 0x32a5705f, v13
	v_dual_add_f32 v49, v49, v76 :: v_dual_fmac_f32 v92, 0x32a5705f, v17
	v_dual_fmac_f32 v86, 0x32a5705f, v14 :: v_dual_add_f32 v45, v45, v65
	v_add_f32_e32 v58, v58, v94
	v_exp_f32_e32 v44, v44
	v_dual_sub_f32 v52, v52, v83 :: v_dual_sub_f32 v59, v59, v97
	s_delay_alu instid0(VALU_DEP_3)
	v_dual_sub_f32 v60, v60, v99 :: v_dual_add_f32 v54, v54, v86
	v_cvt_i32_f32_e32 v64, v64
	v_dual_add_f32 v53, v53, v84 :: v_dual_fmac_f32 v96, 0x32a5705f, v19
	v_dual_add_f32 v57, v57, v92 :: v_dual_fmac_f32 v98, 0x32a5705f, v43
	v_ldexp_f32 v0, v0, v62
	v_cmp_ngt_f32_e32 vcc_lo, 0xc2ce8ed0, v1
	v_fma_f32 v67, 0x3fb8aa3b, v6, -v46
	v_rndne_f32_e32 v68, v46
	v_exp_f32_e32 v45, v45
	v_cvt_i32_f32_e32 v66, v66
	v_dual_add_f32 v59, v59, v96 :: v_dual_add_f32 v60, v60, v98
	v_cndmask_b32_e32 v0, 0, v0, vcc_lo
	v_ldexp_f32 v44, v44, v64
	v_cmp_ngt_f32_e32 vcc_lo, 0xc2ce8ed0, v4
	v_dual_fmac_f32 v67, 0x32a5705f, v6 :: v_dual_sub_f32 v46, v46, v68
	v_fma_f32 v90, 0x3fb8aa3b, v16, -v56
	v_ldexp_f32 v45, v45, v66
	v_cndmask_b32_e32 v44, 0, v44, vcc_lo
	v_cmp_ngt_f32_e32 vcc_lo, 0xc2ce8ed0, v5
	v_dual_add_f32 v46, v46, v67 :: v_dual_add_f32 v52, v52, v82
	v_rndne_f32_e32 v91, v56
	v_dual_fmac_f32 v90, 0x32a5705f, v16 :: v_dual_cndmask_b32 v45, 0, v45
	v_cmp_nlt_f32_e32 vcc_lo, 0x42b17218, v1
	s_delay_alu instid0(VALU_DEP_4) | instskip(NEXT) | instid1(VALU_DEP_3)
	v_exp_f32_e32 v46, v46
	v_dual_sub_f32 v56, v56, v91 :: v_dual_add_f32 v50, v50, v78
	v_cvt_i32_f32_e32 v68, v68
	v_cndmask_b32_e32 v0, 0x7f800000, v0, vcc_lo
	v_cmp_nlt_f32_e32 vcc_lo, 0x42b17218, v4
	v_exp_f32_e32 v47, v47
	v_cvt_i32_f32_e32 v71, v71
	v_add_f32_e32 v56, v56, v90
	v_ldexp_f32 v46, v46, v68
	v_cndmask_b32_e32 v1, 0x7f800000, v44, vcc_lo
	v_cmp_ngt_f32_e32 vcc_lo, 0xc2ce8ed0, v6
	v_exp_f32_e32 v48, v48
	v_ldexp_f32 v47, v47, v71
	v_cvt_i32_f32_e32 v73, v73
	v_exp_f32_e32 v49, v49
	v_cndmask_b32_e32 v44, 0, v46, vcc_lo
	v_cmp_nlt_f32_e32 vcc_lo, 0x42b17218, v5
	v_cvt_i32_f32_e32 v77, v77
	v_ldexp_f32 v48, v48, v73
	v_exp_f32_e32 v50, v50
	v_cvt_i32_f32_e32 v79, v79
	v_cndmask_b32_e32 v4, 0x7f800000, v45, vcc_lo
	v_cmp_ngt_f32_e32 vcc_lo, 0xc2ce8ed0, v7
	v_add_f32_e32 v45, v0, v1
	v_ldexp_f32 v49, v49, v77
	v_exp_f32_e32 v51, v51
	v_ldexp_f32 v50, v50, v79
	v_cndmask_b32_e32 v46, 0, v47, vcc_lo
	v_cmp_nlt_f32_e32 vcc_lo, 0x42b17218, v6
	v_cvt_i32_f32_e32 v81, v81
	v_exp_f32_e32 v52, v52
	v_cvt_i32_f32_e32 v83, v83
	v_exp_f32_e32 v53, v53
	v_dual_cndmask_b32 v5, 0x7f800000, v44 :: v_dual_add_f32 v44, v4, v45
	v_cmp_ngt_f32_e32 vcc_lo, 0xc2ce8ed0, v8
	v_ldexp_f32 v51, v51, v81
	v_cvt_i32_f32_e32 v85, v85
	v_ldexp_f32 v52, v52, v83
	v_exp_f32_e32 v54, v54
	v_cndmask_b32_e32 v45, 0, v48, vcc_lo
	v_cmp_nlt_f32_e32 vcc_lo, 0x42b17218, v7
	v_ldexp_f32 v53, v53, v85
	v_cvt_i32_f32_e32 v87, v87
	v_exp_f32_e32 v55, v55
	v_cvt_i32_f32_e32 v89, v89
	v_cndmask_b32_e32 v6, 0x7f800000, v46, vcc_lo
	v_cmp_ngt_f32_e32 vcc_lo, 0xc2ce8ed0, v9
	v_ldexp_f32 v54, v54, v87
	v_exp_f32_e32 v56, v56
	v_cvt_i32_f32_e32 v91, v91
	v_ldexp_f32 v55, v55, v89
	v_cndmask_b32_e32 v46, 0, v49, vcc_lo
	v_cmp_nlt_f32_e32 vcc_lo, 0x42b17218, v8
	v_add_f32_e32 v44, v5, v44
	v_exp_f32_e32 v57, v57
	v_cvt_i32_f32_e32 v93, v93
	v_ldexp_f32 v56, v56, v91
	v_cndmask_b32_e32 v7, 0x7f800000, v45, vcc_lo
	v_cmp_ngt_f32_e32 vcc_lo, 0xc2ce8ed0, v10
	v_add_f32_e32 v44, v6, v44
	v_exp_f32_e32 v58, v58
	v_ldexp_f32 v57, v57, v93
	v_cvt_i32_f32_e32 v95, v95
	v_cndmask_b32_e32 v45, 0, v50, vcc_lo
	v_cmp_nlt_f32_e32 vcc_lo, 0x42b17218, v9
	v_exp_f32_e32 v59, v59
	v_cvt_i32_f32_e32 v97, v97
	v_ldexp_f32 v58, v58, v95
	v_exp_f32_e32 v60, v60
	v_cndmask_b32_e32 v8, 0x7f800000, v46, vcc_lo
	v_cmp_ngt_f32_e32 vcc_lo, 0xc2ce8ed0, v11
	v_add_f32_e32 v44, v7, v44
	v_ldexp_f32 v59, v59, v97
	v_cvt_i32_f32_e32 v99, v99
	v_cndmask_b32_e32 v46, 0, v51, vcc_lo
	v_cmp_nlt_f32_e32 vcc_lo, 0x42b17218, v10
	v_add_f32_e32 v44, v8, v44
	s_delay_alu instid0(VALU_DEP_4)
	v_ldexp_f32 v60, v60, v99
	v_cndmask_b32_e32 v9, 0x7f800000, v45, vcc_lo
	v_cmp_ngt_f32_e32 vcc_lo, 0xc2ce8ed0, v12
	v_cndmask_b32_e32 v45, 0, v52, vcc_lo
	v_cmp_nlt_f32_e32 vcc_lo, 0x42b17218, v11
	v_cndmask_b32_e32 v10, 0x7f800000, v46, vcc_lo
	v_cmp_ngt_f32_e32 vcc_lo, 0xc2ce8ed0, v13
	v_cndmask_b32_e32 v46, 0, v53, vcc_lo
	v_cmp_nlt_f32_e32 vcc_lo, 0x42b17218, v12
	v_dual_add_f32 v44, v9, v44 :: v_dual_cndmask_b32 v11, 0x7f800000, v45
	v_cmp_ngt_f32_e32 vcc_lo, 0xc2ce8ed0, v14
	s_delay_alu instid0(VALU_DEP_2) | instskip(SKIP_3) | instid1(VALU_DEP_4)
	v_dual_add_f32 v44, v10, v44 :: v_dual_cndmask_b32 v45, 0, v54
	v_cmp_nlt_f32_e32 vcc_lo, 0x42b17218, v13
	v_cndmask_b32_e32 v12, 0x7f800000, v46, vcc_lo
	v_cmp_ngt_f32_e32 vcc_lo, 0xc2ce8ed0, v15
	v_dual_add_f32 v44, v11, v44 :: v_dual_cndmask_b32 v46, 0, v55, vcc_lo
	v_cmp_nlt_f32_e32 vcc_lo, 0x42b17218, v14
	s_delay_alu instid0(VALU_DEP_2)
	v_dual_add_f32 v44, v12, v44 :: v_dual_cndmask_b32 v13, 0x7f800000, v45
	v_cmp_ngt_f32_e32 vcc_lo, 0xc2ce8ed0, v16
	v_cndmask_b32_e32 v45, 0, v56, vcc_lo
	v_cmp_nlt_f32_e32 vcc_lo, 0x42b17218, v15
	v_cndmask_b32_e32 v14, 0x7f800000, v46, vcc_lo
	v_cmp_ngt_f32_e32 vcc_lo, 0xc2ce8ed0, v17
	v_cndmask_b32_e32 v46, 0, v57, vcc_lo
	v_cmp_nlt_f32_e32 vcc_lo, 0x42b17218, v16
	v_dual_add_f32 v44, v13, v44 :: v_dual_cndmask_b32 v15, 0x7f800000, v45
	v_cmp_ngt_f32_e32 vcc_lo, 0xc2ce8ed0, v18
	s_delay_alu instid0(VALU_DEP_2) | instskip(SKIP_3) | instid1(VALU_DEP_4)
	v_dual_add_f32 v44, v14, v44 :: v_dual_cndmask_b32 v45, 0, v58
	v_cmp_nlt_f32_e32 vcc_lo, 0x42b17218, v17
	v_cndmask_b32_e32 v16, 0x7f800000, v46, vcc_lo
	v_cmp_ngt_f32_e32 vcc_lo, 0xc2ce8ed0, v19
	v_dual_add_f32 v44, v15, v44 :: v_dual_cndmask_b32 v46, 0, v59, vcc_lo
	v_cmp_nlt_f32_e32 vcc_lo, 0x42b17218, v18
	s_delay_alu instid0(VALU_DEP_2)
	v_dual_add_f32 v44, v16, v44 :: v_dual_cndmask_b32 v17, 0x7f800000, v45
	v_cmp_ngt_f32_e32 vcc_lo, 0xc2ce8ed0, v43
	v_cndmask_b32_e32 v45, 0, v60, vcc_lo
	v_cmp_nlt_f32_e32 vcc_lo, 0x42b17218, v19
	v_cndmask_b32_e32 v18, 0x7f800000, v46, vcc_lo
	v_cmp_nlt_f32_e32 vcc_lo, 0x42b17218, v43
	s_delay_alu instid0(VALU_DEP_4) | instskip(NEXT) | instid1(VALU_DEP_1)
	v_dual_add_f32 v44, v17, v44 :: v_dual_cndmask_b32 v19, 0x7f800000, v45
	v_add_f32_e32 v43, v18, v44
	s_delay_alu instid0(VALU_DEP_1)
	v_add_f32_e32 v43, v19, v43
	ds_bpermute_b32 v32, v32, v43
	s_wait_dscnt 0x0
	v_add_f32_e32 v32, v43, v32
	ds_bpermute_b32 v39, v39, v32
	s_wait_dscnt 0x0
	;; [unrolled: 3-line block ×5, first 2 shown]
	v_add_f32_e32 v32, v32, v39
	s_delay_alu instid0(VALU_DEP_1) | instskip(SKIP_1) | instid1(VALU_DEP_2)
	v_div_scale_f32 v39, null, v32, v32, 1.0
	v_div_scale_f32 v42, vcc_lo, 1.0, v32, 1.0
	v_rcp_f32_e32 v40, v39
	v_nop
	s_delay_alu instid0(TRANS32_DEP_1) | instskip(NEXT) | instid1(VALU_DEP_1)
	v_fma_f32 v41, -v39, v40, 1.0
	v_fmac_f32_e32 v40, v41, v40
	s_delay_alu instid0(VALU_DEP_1) | instskip(NEXT) | instid1(VALU_DEP_1)
	v_mul_f32_e32 v41, v42, v40
	v_fma_f32 v43, -v39, v41, v42
	s_delay_alu instid0(VALU_DEP_1) | instskip(NEXT) | instid1(VALU_DEP_1)
	v_fmac_f32_e32 v41, v43, v40
	v_fma_f32 v39, -v39, v41, v42
	s_delay_alu instid0(VALU_DEP_1) | instskip(NEXT) | instid1(VALU_DEP_1)
	v_div_fmas_f32 v39, v39, v40, v41
	v_div_fixup_f32 v32, v39, v32, 1.0
	s_delay_alu instid0(VALU_DEP_1)
	v_pk_mul_f32 v[0:1], v[0:1], v[32:33] op_sel_hi:[1,0]
	v_pk_mul_f32 v[4:5], v[4:5], v[32:33] op_sel_hi:[1,0]
	;; [unrolled: 1-line block ×9, first 2 shown]
	s_and_not1_b32 vcc_lo, exec_lo, s1
	s_cbranch_vccz .LBB21_5
	s_branch .LBB21_6
.LBB21_4:
                                        ; implicit-def: $vgpr19
                                        ; implicit-def: $vgpr17
                                        ; implicit-def: $vgpr15
                                        ; implicit-def: $vgpr13
                                        ; implicit-def: $vgpr11
                                        ; implicit-def: $vgpr9
                                        ; implicit-def: $vgpr7
                                        ; implicit-def: $vgpr5
                                        ; implicit-def: $vgpr1
.LBB21_5:
	s_wait_loadcnt 0x10
	v_dual_mul_f32 v0, 0xbfb8aa3b, v38 :: v_dual_mul_f32 v1, 0xbfb8aa3b, v37
	v_cmp_nlt_f32_e32 vcc_lo, 0x42ce8ed0, v38
	s_wait_loadcnt 0xf
	v_cmp_nlt_f32_e64 s1, 0x42ce8ed0, v20
	s_wait_loadcnt 0xe
	v_cmp_ngt_f32_e64 s2, 0xc2b17218, v21
	s_wait_xcnt 0x0
	v_rndne_f32_e32 v4, v0
	v_fma_f32 v5, 0xbfb8aa3b, v38, -v0
	v_rndne_f32_e32 v6, v1
	v_fma_f32 v7, 0xbfb8aa3b, v37, -v1
	s_wait_loadcnt 0xd
	v_mul_f32_e32 v8, 0xbfb8aa3b, v22
	v_dual_sub_f32 v0, v0, v4 :: v_dual_fmac_f32 v5, 0xb2a5705f, v38
	v_sub_f32_e32 v1, v1, v6
	v_cvt_i32_f32_e32 v4, v4
	v_cvt_i32_f32_e32 v6, v6
	v_rndne_f32_e32 v12, v8
	v_dual_add_f32 v0, v0, v5 :: v_dual_mul_f32 v5, 0xbfb8aa3b, v20
	v_fma_f32 v13, 0xbfb8aa3b, v22, -v8
	s_delay_alu instid0(VALU_DEP_3) | instskip(NEXT) | instid1(VALU_DEP_3)
	v_sub_f32_e32 v8, v8, v12
	v_exp_f32_e32 v0, v0
	s_delay_alu instid0(VALU_DEP_3) | instskip(SKIP_1) | instid1(VALU_DEP_2)
	v_rndne_f32_e32 v10, v5
	v_fma_f32 v11, 0xbfb8aa3b, v20, -v5
	v_sub_f32_e32 v5, v5, v10
	s_delay_alu instid0(TRANS32_DEP_1) | instskip(SKIP_2) | instid1(VALU_DEP_2)
	v_ldexp_f32 v0, v0, v4
	v_fmac_f32_e32 v7, 0xb2a5705f, v37
	v_cvt_i32_f32_e32 v10, v10
	v_dual_cndmask_b32 v0, 0, v0 :: v_dual_add_f32 v1, v1, v7
	v_cmp_nlt_f32_e32 vcc_lo, 0x42ce8ed0, v37
	v_mul_f32_e32 v7, 0xbfb8aa3b, v21
	s_delay_alu instid0(VALU_DEP_3) | instskip(NEXT) | instid1(VALU_DEP_1)
	v_exp_f32_e32 v1, v1
	v_rndne_f32_e32 v4, v7
	s_delay_alu instid0(TRANS32_DEP_1) | instskip(SKIP_2) | instid1(VALU_DEP_3)
	v_ldexp_f32 v1, v1, v6
	v_fma_f32 v6, 0xbfb8aa3b, v21, -v7
	v_fmac_f32_e32 v11, 0xb2a5705f, v20
	v_cndmask_b32_e32 v1, 0, v1, vcc_lo
	v_cmp_ngt_f32_e32 vcc_lo, 0xc2b17218, v38
	s_delay_alu instid0(VALU_DEP_4) | instskip(NEXT) | instid1(VALU_DEP_4)
	v_dual_fmac_f32 v6, 0xb2a5705f, v21 :: v_dual_sub_f32 v7, v7, v4
	v_add_f32_e32 v5, v5, v11
	s_wait_loadcnt 0xc
	v_mul_f32_e32 v9, 0xbfb8aa3b, v23
	v_cndmask_b32_e32 v0, 0x7f800000, v0, vcc_lo
	v_cmp_ngt_f32_e32 vcc_lo, 0xc2b17218, v37
	v_add_f32_e32 v6, v7, v6
	v_exp_f32_e32 v5, v5
	v_cvt_i32_f32_e32 v4, v4
	v_rndne_f32_e32 v14, v9
	v_cndmask_b32_e32 v1, 0x7f800000, v1, vcc_lo
	v_exp_f32_e32 v6, v6
	v_fma_f32 v7, 0xbfb8aa3b, v23, -v9
	s_delay_alu instid0(TRANS32_DEP_2) | instskip(NEXT) | instid1(VALU_DEP_3)
	v_ldexp_f32 v5, v5, v10
	v_pk_add_f32 v[0:1], v[0:1], 1.0 op_sel_hi:[1,0]
	v_sub_f32_e32 v9, v9, v14
	s_delay_alu instid0(TRANS32_DEP_1) | instskip(NEXT) | instid1(VALU_DEP_4)
	v_ldexp_f32 v4, v6, v4
	v_cndmask_b32_e64 v5, 0, v5, s1
	s_delay_alu instid0(VALU_DEP_4) | instskip(SKIP_2) | instid1(VALU_DEP_3)
	v_div_scale_f32 v11, null, v0, v0, 1.0
	v_div_scale_f32 v16, null, v1, v1, 1.0
	v_div_scale_f32 v6, vcc_lo, 1.0, v0, 1.0
	v_rcp_f32_e32 v15, v11
	s_delay_alu instid0(VALU_DEP_2) | instskip(SKIP_1) | instid1(TRANS32_DEP_2)
	v_rcp_f32_e32 v17, v16
	v_cmp_nlt_f32_e64 s1, 0x42ce8ed0, v21
	v_fma_f32 v10, -v11, v15, 1.0
	s_delay_alu instid0(TRANS32_DEP_1) | instskip(NEXT) | instid1(VALU_DEP_2)
	v_fma_f32 v18, -v16, v17, 1.0
	v_dual_fmac_f32 v15, v10, v15 :: v_dual_cndmask_b32 v10, 0, v4, s1
	v_cmp_ngt_f32_e64 s1, 0xc2b17218, v20
	s_delay_alu instid0(VALU_DEP_2) | instskip(NEXT) | instid1(VALU_DEP_4)
	v_mul_f32_e32 v19, v6, v15
	v_fmac_f32_e32 v17, v18, v17
	s_delay_alu instid0(VALU_DEP_3) | instskip(SKIP_1) | instid1(VALU_DEP_4)
	v_cndmask_b32_e64 v4, 0x7f800000, v5, s1
	v_div_scale_f32 v20, s1, 1.0, v1, 1.0
	v_fma_f32 v18, -v11, v19, v6
	v_cndmask_b32_e64 v5, 0x7f800000, v10, s2
	s_delay_alu instid0(VALU_DEP_3) | instskip(SKIP_1) | instid1(VALU_DEP_4)
	v_dual_fmac_f32 v13, 0xb2a5705f, v22 :: v_dual_mul_f32 v10, v20, v17
	v_fmac_f32_e32 v7, 0xb2a5705f, v23
	v_fmac_f32_e32 v19, v18, v15
	s_delay_alu instid0(VALU_DEP_4) | instskip(NEXT) | instid1(VALU_DEP_4)
	v_pk_add_f32 v[4:5], v[4:5], 1.0 op_sel_hi:[1,0]
	v_add_f32_e32 v8, v8, v13
	v_fma_f32 v18, -v16, v10, v20
	v_cvt_i32_f32_e32 v13, v14
	v_fma_f32 v6, -v11, v19, v6
	v_add_f32_e32 v7, v9, v7
	v_div_scale_f32 v11, null, v4, v4, 1.0
	v_fmac_f32_e32 v10, v18, v17
	v_exp_f32_e32 v8, v8
	s_delay_alu instid0(VALU_DEP_3)
	v_exp_f32_e32 v7, v7
	v_cvt_i32_f32_e32 v9, v12
	v_rcp_f32_e32 v12, v11
	v_div_fmas_f32 v6, v6, v15, v19
	v_cmp_nlt_f32_e32 vcc_lo, 0x42ce8ed0, v22
	v_div_scale_f32 v15, s2, 1.0, v4, 1.0
	s_delay_alu instid0(TRANS32_DEP_2) | instskip(SKIP_4) | instid1(VALU_DEP_4)
	v_ldexp_f32 v7, v7, v13
	v_div_scale_f32 v13, null, v5, v5, 1.0
	v_div_fixup_f32 v0, v6, v0, 1.0
	v_ldexp_f32 v6, v8, v9
	v_fma_f32 v9, -v11, v12, 1.0
	v_rcp_f32_e32 v14, v13
	s_delay_alu instid0(VALU_DEP_1) | instskip(SKIP_1) | instid1(TRANS32_DEP_1)
	v_dual_fmac_f32 v12, v9, v12 :: v_dual_cndmask_b32 v6, 0, v6, vcc_lo
	v_cmp_nlt_f32_e32 vcc_lo, 0x42ce8ed0, v23
	v_fma_f32 v9, -v13, v14, 1.0
	v_dual_fma_f32 v8, -v16, v10, v20 :: v_dual_cndmask_b32 v7, 0, v7, vcc_lo
	v_cmp_ngt_f32_e32 vcc_lo, 0xc2b17218, v22
	s_wait_loadcnt 0xb
	s_delay_alu instid0(VALU_DEP_3) | instskip(SKIP_2) | instid1(VALU_DEP_2)
	v_dual_fmac_f32 v14, v9, v14 :: v_dual_mul_f32 v9, 0xbfb8aa3b, v24
	s_wait_loadcnt 0xa
	v_mul_f32_e32 v18, 0xbfb8aa3b, v25
	v_rndne_f32_e32 v20, v9
	v_cndmask_b32_e32 v6, 0x7f800000, v6, vcc_lo
	v_cmp_ngt_f32_e32 vcc_lo, 0xc2b17218, v23
	s_delay_alu instid0(VALU_DEP_4)
	v_rndne_f32_e32 v22, v18
	v_fma_f32 v21, 0xbfb8aa3b, v24, -v9
	v_sub_f32_e32 v9, v9, v20
	v_cvt_i32_f32_e32 v20, v20
	v_cndmask_b32_e32 v7, 0x7f800000, v7, vcc_lo
	s_mov_b32 vcc_lo, s1
	v_div_scale_f32 v19, s1, 1.0, v5, 1.0
	v_div_fmas_f32 v8, v8, v17, v10
	v_mul_f32_e32 v10, v15, v12
	v_cmp_nlt_f32_e32 vcc_lo, 0x42ce8ed0, v24
	s_delay_alu instid0(VALU_DEP_4) | instskip(SKIP_4) | instid1(VALU_DEP_2)
	v_mul_f32_e32 v37, v19, v14
	v_fma_f32 v23, 0xbfb8aa3b, v25, -v18
	v_sub_f32_e32 v18, v18, v22
	v_pk_add_f32 v[6:7], v[6:7], 1.0 op_sel_hi:[1,0]
	v_div_fixup_f32 v1, v8, v1, 1.0
	v_div_scale_f32 v16, null, v6, v6, 1.0
	s_delay_alu instid0(VALU_DEP_1) | instskip(SKIP_1) | instid1(TRANS32_DEP_1)
	v_rcp_f32_e32 v17, v16
	v_nop
	v_fma_f32 v32, -v16, v17, 1.0
	s_delay_alu instid0(VALU_DEP_1) | instskip(SKIP_1) | instid1(VALU_DEP_2)
	v_dual_fma_f32 v8, -v11, v10, v15 :: v_dual_fmac_f32 v17, v32, v17
	v_fmac_f32_e32 v21, 0xb2a5705f, v24
	v_dual_fmac_f32 v23, 0xb2a5705f, v25 :: v_dual_fmac_f32 v10, v8, v12
	s_delay_alu instid0(VALU_DEP_1) | instskip(SKIP_2) | instid1(VALU_DEP_3)
	v_dual_add_f32 v8, v9, v21 :: v_dual_add_f32 v9, v18, v23
	v_cvt_i32_f32_e32 v21, v22
	v_div_scale_f32 v18, s3, 1.0, v6, 1.0
	v_exp_f32_e32 v8, v8
	s_delay_alu instid0(VALU_DEP_3) | instskip(SKIP_1) | instid1(TRANS32_DEP_2)
	v_exp_f32_e32 v9, v9
	v_div_scale_f32 v22, null, v7, v7, 1.0
	v_ldexp_f32 v8, v8, v20
	v_fma_f32 v23, -v13, v37, v19
	s_delay_alu instid0(TRANS32_DEP_1) | instskip(SKIP_4) | instid1(VALU_DEP_3)
	v_ldexp_f32 v9, v9, v21
	v_mul_f32_e32 v20, v18, v17
	v_rcp_f32_e32 v21, v22
	v_cndmask_b32_e32 v8, 0, v8, vcc_lo
	v_cmp_nlt_f32_e32 vcc_lo, 0x42ce8ed0, v25
	v_dual_fmac_f32 v37, v23, v14 :: v_dual_fma_f32 v32, -v16, v20, v18
	v_fma_f32 v11, -v11, v10, v15
	v_div_scale_f32 v15, s4, 1.0, v7, 1.0
	v_cndmask_b32_e32 v9, 0, v9, vcc_lo
	v_cmp_ngt_f32_e32 vcc_lo, 0xc2b17218, v24
	v_fmac_f32_e32 v20, v32, v17
	v_fma_f32 v24, -v22, v21, 1.0
	v_cndmask_b32_e32 v8, 0x7f800000, v8, vcc_lo
	v_cmp_ngt_f32_e32 vcc_lo, 0xc2b17218, v25
	s_delay_alu instid0(VALU_DEP_3) | instskip(SKIP_4) | instid1(VALU_DEP_3)
	v_fmac_f32_e32 v21, v24, v21
	v_cndmask_b32_e32 v9, 0x7f800000, v9, vcc_lo
	s_mov_b32 vcc_lo, s2
	v_div_fmas_f32 v10, v11, v12, v10
	v_dual_fma_f32 v11, -v13, v37, v19 :: v_dual_fma_f32 v12, -v16, v20, v18
	v_pk_add_f32 v[8:9], v[8:9], 1.0 op_sel_hi:[1,0]
	s_mov_b32 vcc_lo, s1
	s_delay_alu instid0(VALU_DEP_3) | instskip(NEXT) | instid1(VALU_DEP_3)
	v_div_fixup_f32 v4, v10, v4, 1.0
	v_div_fmas_f32 v11, v11, v14, v37
	s_mov_b32 vcc_lo, s3
	v_div_scale_f32 v23, null, v8, v8, 1.0
	v_div_fmas_f32 v12, v12, v17, v20
	s_delay_alu instid0(VALU_DEP_3) | instskip(SKIP_1) | instid1(VALU_DEP_3)
	v_div_fixup_f32 v5, v11, v5, 1.0
	s_mov_b32 vcc_lo, s4
	v_rcp_f32_e32 v16, v23
	v_div_scale_f32 v24, null, v9, v9, 1.0
	v_div_fixup_f32 v6, v12, v6, 1.0
	v_div_scale_f32 v12, s1, 1.0, v8, 1.0
	s_delay_alu instid0(TRANS32_DEP_1) | instskip(NEXT) | instid1(VALU_DEP_1)
	v_fma_f32 v10, -v23, v16, 1.0
	v_fmac_f32_e32 v16, v10, v16
	s_wait_loadcnt 0x8
	v_dual_mul_f32 v10, 0xbfb8aa3b, v27 :: v_dual_mul_f32 v13, v15, v21
	s_delay_alu instid0(VALU_DEP_2) | instskip(NEXT) | instid1(VALU_DEP_2)
	v_mul_f32_e32 v20, v12, v16
	v_rndne_f32_e32 v18, v10
	v_fma_f32 v19, 0xbfb8aa3b, v27, -v10
	s_delay_alu instid0(VALU_DEP_4) | instskip(NEXT) | instid1(VALU_DEP_2)
	v_fma_f32 v14, -v22, v13, v15
	v_dual_sub_f32 v10, v10, v18 :: v_dual_fmac_f32 v19, 0xb2a5705f, v27
	v_mul_f32_e32 v11, 0xbfb8aa3b, v26
	v_cvt_i32_f32_e32 v18, v18
	s_delay_alu instid0(VALU_DEP_3) | instskip(SKIP_1) | instid1(VALU_DEP_4)
	v_add_f32_e32 v10, v10, v19
	v_fmac_f32_e32 v13, v14, v21
	v_rndne_f32_e32 v14, v11
	v_fma_f32 v17, 0xbfb8aa3b, v26, -v11
	v_rcp_f32_e32 v19, v24
	v_exp_f32_e32 v10, v10
	s_delay_alu instid0(VALU_DEP_2) | instskip(NEXT) | instid1(VALU_DEP_2)
	v_sub_f32_e32 v11, v11, v14
	v_fmac_f32_e32 v17, 0xb2a5705f, v26
	v_fma_f32 v15, -v22, v13, v15
	v_cvt_i32_f32_e32 v14, v14
	s_delay_alu instid0(TRANS32_DEP_1) | instskip(NEXT) | instid1(VALU_DEP_4)
	v_ldexp_f32 v10, v10, v18
	v_add_f32_e32 v11, v11, v17
	s_delay_alu instid0(VALU_DEP_4) | instskip(SKIP_3) | instid1(VALU_DEP_4)
	v_div_fmas_f32 v15, v15, v21, v13
	v_cmp_nlt_f32_e32 vcc_lo, 0x42ce8ed0, v26
	v_fma_f32 v17, -v23, v20, v12
	v_fma_f32 v13, -v24, v19, 1.0
	v_div_fixup_f32 v7, v15, v7, 1.0
	s_delay_alu instid0(VALU_DEP_3) | instskip(SKIP_1) | instid1(VALU_DEP_3)
	v_fmac_f32_e32 v20, v17, v16
	v_exp_f32_e32 v11, v11
	v_fmac_f32_e32 v19, v13, v19
	s_wait_loadcnt 0x7
	v_mul_f32_e32 v13, 0xbfb8aa3b, v28
	v_div_scale_f32 v17, s2, 1.0, v9, 1.0
	v_fma_f32 v12, -v23, v20, v12
	s_delay_alu instid0(TRANS32_DEP_1) | instskip(NEXT) | instid1(VALU_DEP_4)
	v_ldexp_f32 v11, v11, v14
	v_rndne_f32_e32 v18, v13
	s_delay_alu instid0(VALU_DEP_4) | instskip(NEXT) | instid1(VALU_DEP_3)
	v_mul_f32_e32 v23, v17, v19
	v_cndmask_b32_e32 v11, 0, v11, vcc_lo
	v_cmp_nlt_f32_e32 vcc_lo, 0x42ce8ed0, v27
	v_cndmask_b32_e32 v14, 0, v10, vcc_lo
	v_cmp_ngt_f32_e32 vcc_lo, 0xc2b17218, v26
	s_delay_alu instid0(VALU_DEP_4) | instskip(SKIP_1) | instid1(VALU_DEP_4)
	v_cndmask_b32_e32 v10, 0x7f800000, v11, vcc_lo
	v_cmp_ngt_f32_e32 vcc_lo, 0xc2b17218, v27
	v_cndmask_b32_e32 v11, 0x7f800000, v14, vcc_lo
	s_wait_loadcnt 0x6
	v_mul_f32_e32 v14, 0xbfb8aa3b, v29
	v_fma_f32 v21, 0xbfb8aa3b, v28, -v13
	v_sub_f32_e32 v13, v13, v18
	s_mov_b32 vcc_lo, s1
	v_pk_add_f32 v[10:11], v[10:11], 1.0 op_sel_hi:[1,0]
	v_rndne_f32_e32 v22, v14
	v_fmac_f32_e32 v21, 0xb2a5705f, v28
	v_fma_f32 v25, 0xbfb8aa3b, v29, -v14
	v_div_fmas_f32 v16, v12, v16, v20
	v_div_scale_f32 v26, null, v10, v10, 1.0
	s_delay_alu instid0(VALU_DEP_4) | instskip(SKIP_1) | instid1(VALU_DEP_3)
	v_dual_sub_f32 v14, v14, v22 :: v_dual_add_f32 v13, v13, v21
	v_fma_f32 v20, -v24, v23, v17
	v_rcp_f32_e32 v27, v26
	v_cvt_i32_f32_e32 v18, v18
	v_cmp_nlt_f32_e32 vcc_lo, 0x42ce8ed0, v28
	v_exp_f32_e32 v13, v13
	v_cvt_i32_f32_e32 v21, v22
	v_div_scale_f32 v22, s1, 1.0, v10, 1.0
	s_delay_alu instid0(TRANS32_DEP_2) | instskip(SKIP_1) | instid1(VALU_DEP_2)
	v_fma_f32 v12, -v26, v27, 1.0
	v_div_fixup_f32 v8, v16, v8, 1.0
	v_fmac_f32_e32 v27, v12, v27
	s_delay_alu instid0(TRANS32_DEP_1) | instskip(SKIP_2) | instid1(VALU_DEP_2)
	v_ldexp_f32 v12, v13, v18
	v_fmac_f32_e32 v25, 0xb2a5705f, v29
	v_div_scale_f32 v18, null, v11, v11, 1.0
	v_dual_cndmask_b32 v12, 0, v12, vcc_lo :: v_dual_add_f32 v14, v14, v25
	v_cmp_nlt_f32_e32 vcc_lo, 0x42ce8ed0, v29
	s_delay_alu instid0(VALU_DEP_2) | instskip(SKIP_1) | instid1(TRANS32_DEP_1)
	v_exp_f32_e32 v14, v14
	v_nop
	v_ldexp_f32 v13, v14, v21
	v_rcp_f32_e32 v21, v18
	s_delay_alu instid0(VALU_DEP_1) | instskip(SKIP_3) | instid1(TRANS32_DEP_1)
	v_cndmask_b32_e32 v13, 0, v13, vcc_lo
	v_cmp_ngt_f32_e32 vcc_lo, 0xc2b17218, v28
	v_mul_f32_e32 v25, v22, v27
	v_fmac_f32_e32 v23, v20, v19
	v_fma_f32 v15, -v18, v21, 1.0
	v_div_scale_f32 v20, s3, 1.0, v11, 1.0
	v_cndmask_b32_e32 v12, 0x7f800000, v12, vcc_lo
	v_cmp_ngt_f32_e32 vcc_lo, 0xc2b17218, v29
	v_fma_f32 v14, -v26, v25, v22
	v_cndmask_b32_e32 v13, 0x7f800000, v13, vcc_lo
	s_wait_loadcnt 0x5
	s_delay_alu instid0(VALU_DEP_2) | instskip(SKIP_3) | instid1(VALU_DEP_3)
	v_dual_fmac_f32 v25, v14, v27 :: v_dual_mul_f32 v14, 0xbfb8aa3b, v30
	v_fma_f32 v16, -v24, v23, v17
	s_mov_b32 vcc_lo, s2
	v_pk_add_f32 v[12:13], v[12:13], 1.0 op_sel_hi:[1,0]
	v_fma_f32 v28, 0xbfb8aa3b, v30, -v14
	s_delay_alu instid0(VALU_DEP_3) | instskip(SKIP_1) | instid1(VALU_DEP_4)
	v_div_fmas_f32 v16, v16, v19, v23
	v_fma_f32 v19, -v26, v25, v22
	v_div_scale_f32 v17, null, v12, v12, 1.0
	v_rndne_f32_e32 v26, v14
	v_dual_fmac_f32 v21, v15, v21 :: v_dual_fmac_f32 v28, 0xb2a5705f, v30
	s_delay_alu instid0(VALU_DEP_3)
	v_rcp_f32_e32 v24, v17
	v_cmp_nlt_f32_e32 vcc_lo, 0x42ce8ed0, v30
	s_wait_loadcnt 0x4
	v_dual_sub_f32 v14, v14, v26 :: v_dual_mul_f32 v15, 0xbfb8aa3b, v31
	v_mul_f32_e32 v22, v20, v21
	v_cvt_i32_f32_e32 v26, v26
	v_div_fixup_f32 v9, v16, v9, 1.0
	v_fma_f32 v23, -v17, v24, 1.0
	v_add_f32_e32 v14, v14, v28
	v_rndne_f32_e32 v29, v15
	v_fma_f32 v32, 0xbfb8aa3b, v31, -v15
	v_fma_f32 v37, -v18, v22, v20
	v_fmac_f32_e32 v24, v23, v24
	v_div_scale_f32 v23, null, v13, v13, 1.0
	s_delay_alu instid0(VALU_DEP_4) | instskip(SKIP_3) | instid1(VALU_DEP_3)
	v_dual_sub_f32 v15, v15, v29 :: v_dual_fmac_f32 v32, 0xb2a5705f, v31
	v_exp_f32_e32 v14, v14
	v_div_scale_f32 v28, s2, 1.0, v12, 1.0
	v_cvt_i32_f32_e32 v29, v29
	v_add_f32_e32 v15, v15, v32
	v_rcp_f32_e32 v32, v23
	s_delay_alu instid0(VALU_DEP_3) | instskip(NEXT) | instid1(TRANS32_DEP_2)
	v_dual_mul_f32 v38, v28, v24 :: v_dual_fmac_f32 v22, v37, v21
	v_ldexp_f32 v14, v14, v26
	s_delay_alu instid0(VALU_DEP_3) | instskip(NEXT) | instid1(TRANS32_DEP_2)
	v_exp_f32_e32 v15, v15
	v_fma_f32 v39, -v23, v32, 1.0
	s_delay_alu instid0(VALU_DEP_2) | instskip(SKIP_1) | instid1(TRANS32_DEP_1)
	v_cndmask_b32_e32 v14, 0, v14, vcc_lo
	v_cmp_nlt_f32_e32 vcc_lo, 0x42ce8ed0, v31
	v_ldexp_f32 v15, v15, v29
	s_delay_alu instid0(VALU_DEP_4) | instskip(SKIP_2) | instid1(VALU_DEP_4)
	v_fmac_f32_e32 v32, v39, v32
	v_fma_f32 v26, -v17, v38, v28
	v_div_scale_f32 v29, s4, 1.0, v13, 1.0
	v_cndmask_b32_e32 v15, 0, v15, vcc_lo
	v_cmp_ngt_f32_e32 vcc_lo, 0xc2b17218, v30
	s_delay_alu instid0(VALU_DEP_3) | instskip(SKIP_3) | instid1(VALU_DEP_3)
	v_dual_fma_f32 v18, -v18, v22, v20 :: v_dual_mul_f32 v20, v29, v32
	v_fmac_f32_e32 v38, v26, v24
	v_cndmask_b32_e32 v14, 0x7f800000, v14, vcc_lo
	v_cmp_ngt_f32_e32 vcc_lo, 0xc2b17218, v31
	v_fma_f32 v17, -v17, v38, v28
	v_cndmask_b32_e32 v15, 0x7f800000, v15, vcc_lo
	s_mov_b32 vcc_lo, s1
	s_wait_loadcnt 0x3
	v_cmp_nlt_f32_e64 s1, 0x42ce8ed0, v34
	v_div_fmas_f32 v19, v19, v27, v25
	s_mov_b32 vcc_lo, s3
	v_pk_add_f32 v[14:15], v[14:15], 1.0 op_sel_hi:[1,0]
	v_div_fmas_f32 v18, v18, v21, v22
	s_mov_b32 vcc_lo, s2
	v_fma_f32 v22, -v23, v20, v29
	v_div_fmas_f32 v17, v17, v24, v38
	v_div_scale_f32 v21, null, v14, v14, 1.0
	v_div_fixup_f32 v11, v18, v11, 1.0
	v_mul_f32_e32 v18, 0xbfb8aa3b, v34
	v_fmac_f32_e32 v20, v22, v32
	s_delay_alu instid0(VALU_DEP_4)
	v_rcp_f32_e32 v24, v21
	v_div_fixup_f32 v10, v19, v10, 1.0
	v_div_fixup_f32 v12, v17, v12, 1.0
	v_fma_f32 v19, 0xbfb8aa3b, v34, -v18
	s_mov_b32 vcc_lo, s4
	s_wait_loadcnt 0x0
	v_mul_f32_e32 v27, 0xbfb8aa3b, v35
	v_fma_f32 v17, -v21, v24, 1.0
	v_fmac_f32_e32 v19, 0xb2a5705f, v34
	s_delay_alu instid0(VALU_DEP_3) | instskip(NEXT) | instid1(VALU_DEP_3)
	v_fma_f32 v30, 0xbfb8aa3b, v35, -v27
	v_fmac_f32_e32 v24, v17, v24
	v_rndne_f32_e32 v17, v18
	v_fma_f32 v16, -v23, v20, v29
	v_rndne_f32_e32 v29, v27
	s_delay_alu instid0(VALU_DEP_3) | instskip(NEXT) | instid1(VALU_DEP_3)
	v_sub_f32_e32 v18, v18, v17
	v_div_fmas_f32 v16, v16, v32, v20
	v_mul_f32_e32 v20, 0xbfb8aa3b, v33
	v_div_scale_f32 v22, vcc_lo, 1.0, v14, 1.0
	v_cvt_i32_f32_e32 v17, v17
	s_delay_alu instid0(VALU_DEP_4) | instskip(NEXT) | instid1(VALU_DEP_4)
	v_div_fixup_f32 v13, v16, v13, 1.0
	v_rndne_f32_e32 v23, v20
	v_fma_f32 v25, 0xbfb8aa3b, v33, -v20
	v_add_f32_e32 v16, v18, v19
	s_delay_alu instid0(VALU_DEP_3) | instskip(NEXT) | instid1(VALU_DEP_3)
	v_dual_mul_f32 v26, v22, v24 :: v_dual_sub_f32 v18, v20, v23
	v_fmac_f32_e32 v25, 0xb2a5705f, v33
	v_div_scale_f32 v20, null, v15, v15, 1.0
	s_delay_alu instid0(VALU_DEP_3) | instskip(SKIP_1) | instid1(VALU_DEP_3)
	v_fma_f32 v19, -v21, v26, v22
	v_exp_f32_e32 v16, v16
	v_add_f32_e32 v18, v18, v25
	s_delay_alu instid0(VALU_DEP_3) | instskip(NEXT) | instid1(VALU_DEP_2)
	v_rcp_f32_e32 v25, v20
	v_fmac_f32_e32 v26, v19, v24
	v_mul_f32_e32 v19, 0xbfb8aa3b, v36
	s_delay_alu instid0(VALU_DEP_3) | instskip(NEXT) | instid1(TRANS32_DEP_3)
	v_exp_f32_e32 v18, v18
	v_ldexp_f32 v16, v16, v17
	v_cvt_i32_f32_e32 v17, v23
	s_delay_alu instid0(VALU_DEP_3)
	v_rndne_f32_e32 v23, v19
	v_fma_f32 v28, 0xbfb8aa3b, v36, -v19
	s_delay_alu instid0(TRANS32_DEP_1) | instid1(VALU_DEP_3)
	v_ldexp_f32 v17, v18, v17
	s_delay_alu instid0(VALU_DEP_3)
	v_dual_cndmask_b32 v16, 0, v16, s1 :: v_dual_sub_f32 v18, v19, v23
	v_dual_sub_f32 v19, v27, v29 :: v_dual_fma_f32 v21, -v21, v26, v22
	v_fma_f32 v22, -v20, v25, 1.0
	v_fmac_f32_e32 v30, 0xb2a5705f, v35
	v_cvt_i32_f32_e32 v27, v29
	v_cmp_nlt_f32_e64 s1, 0x42ce8ed0, v33
	v_cvt_i32_f32_e32 v23, v23
	v_dual_fmac_f32 v25, v22, v25 :: v_dual_fmac_f32 v28, 0xb2a5705f, v36
	s_delay_alu instid0(VALU_DEP_3) | instskip(SKIP_3) | instid1(VALU_DEP_4)
	v_dual_add_f32 v19, v19, v30 :: v_dual_cndmask_b32 v17, 0, v17, s1
	v_cmp_ngt_f32_e64 s1, 0xc2b17218, v34
	v_div_fmas_f32 v21, v21, v24, v26
	v_div_scale_f32 v22, vcc_lo, 1.0, v15, 1.0
	v_exp_f32_e32 v19, v19
	s_delay_alu instid0(VALU_DEP_3) | instskip(SKIP_3) | instid1(TRANS32_DEP_1)
	v_cndmask_b32_e64 v16, 0x7f800000, v16, s1
	v_cmp_ngt_f32_e64 s1, 0xc2b17218, v33
	v_div_fixup_f32 v14, v21, v14, 1.0
	v_mul_f32_e32 v21, v22, v25
	v_ldexp_f32 v19, v19, v27
	v_add_f32_e32 v18, v18, v28
	v_cndmask_b32_e64 v17, 0x7f800000, v17, s1
	v_cmp_nlt_f32_e64 s1, 0x42ce8ed0, v36
	s_delay_alu instid0(VALU_DEP_3) | instskip(NEXT) | instid1(VALU_DEP_2)
	v_exp_f32_e32 v18, v18
	v_pk_add_f32 v[16:17], v[16:17], 1.0 op_sel_hi:[1,0]
	s_delay_alu instid0(VALU_DEP_1) | instskip(NEXT) | instid1(TRANS32_DEP_1)
	v_div_scale_f32 v26, null, v17, v17, 1.0
	v_ldexp_f32 v18, v18, v23
	s_delay_alu instid0(VALU_DEP_3) | instskip(NEXT) | instid1(VALU_DEP_3)
	v_div_scale_f32 v23, null, v16, v16, 1.0
	v_rcp_f32_e32 v29, v26
	s_delay_alu instid0(VALU_DEP_2) | instskip(SKIP_1) | instid1(VALU_DEP_3)
	v_cndmask_b32_e64 v18, 0, v18, s1
	v_cmp_nlt_f32_e64 s1, 0x42ce8ed0, v35
	v_rcp_f32_e32 v27, v23
	s_delay_alu instid0(TRANS32_DEP_2) | instskip(NEXT) | instid1(VALU_DEP_2)
	v_fma_f32 v32, -v26, v29, 1.0
	v_cndmask_b32_e64 v19, 0, v19, s1
	v_cmp_ngt_f32_e64 s1, 0xc2b17218, v36
	s_delay_alu instid0(TRANS32_DEP_1) | instskip(NEXT) | instid1(VALU_DEP_2)
	v_fma_f32 v24, -v23, v27, 1.0
	v_cndmask_b32_e64 v18, 0x7f800000, v18, s1
	v_cmp_ngt_f32_e64 s1, 0xc2b17218, v35
	s_delay_alu instid0(VALU_DEP_3) | instskip(NEXT) | instid1(VALU_DEP_2)
	v_fmac_f32_e32 v27, v24, v27
	v_cndmask_b32_e64 v19, 0x7f800000, v19, s1
	v_div_scale_f32 v30, s1, 1.0, v16, 1.0
	v_fma_f32 v33, -v20, v21, v22
	s_delay_alu instid0(VALU_DEP_3) | instskip(NEXT) | instid1(VALU_DEP_2)
	v_pk_add_f32 v[18:19], v[18:19], 1.0 op_sel_hi:[1,0]
	v_dual_mul_f32 v34, v30, v27 :: v_dual_fmac_f32 v21, v33, v25
	s_delay_alu instid0(VALU_DEP_2) | instskip(NEXT) | instid1(VALU_DEP_3)
	v_div_scale_f32 v28, null, v18, v18, 1.0
	v_div_scale_f32 v31, null, v19, v19, 1.0
	s_delay_alu instid0(VALU_DEP_3) | instskip(NEXT) | instid1(VALU_DEP_3)
	v_fma_f32 v33, -v23, v34, v30
	v_rcp_f32_e32 v24, v28
	v_fma_f32 v20, -v20, v21, v22
	s_delay_alu instid0(VALU_DEP_3) | instskip(NEXT) | instid1(VALU_DEP_1)
	v_rcp_f32_e32 v36, v31
	v_div_fmas_f32 v20, v20, v25, v21
	s_delay_alu instid0(TRANS32_DEP_2) | instskip(SKIP_2) | instid1(TRANS32_DEP_1)
	v_fma_f32 v35, -v28, v24, 1.0
	v_fmac_f32_e32 v29, v32, v29
	v_div_scale_f32 v32, s2, 1.0, v17, 1.0
	v_fma_f32 v37, -v31, v36, 1.0
	s_delay_alu instid0(VALU_DEP_4) | instskip(SKIP_1) | instid1(VALU_DEP_3)
	v_fmac_f32_e32 v24, v35, v24
	v_div_scale_f32 v35, s3, 1.0, v18, 1.0
	v_dual_mul_f32 v38, v32, v29 :: v_dual_fmac_f32 v36, v37, v36
	v_div_scale_f32 v37, s4, 1.0, v19, 1.0
	s_delay_alu instid0(VALU_DEP_3) | instskip(NEXT) | instid1(VALU_DEP_2)
	v_dual_mul_f32 v39, v35, v24 :: v_dual_fmac_f32 v34, v33, v27
	v_dual_fma_f32 v22, -v26, v38, v32 :: v_dual_mul_f32 v40, v37, v36
	s_mov_b32 vcc_lo, s1
	s_delay_alu instid0(VALU_DEP_2) | instskip(NEXT) | instid1(VALU_DEP_2)
	v_dual_fma_f32 v33, -v28, v39, v35 :: v_dual_fma_f32 v21, -v23, v34, v30
	v_dual_fmac_f32 v38, v22, v29 :: v_dual_fma_f32 v22, -v31, v40, v37
	v_div_fixup_f32 v15, v20, v15, 1.0
	s_delay_alu instid0(VALU_DEP_3) | instskip(NEXT) | instid1(VALU_DEP_4)
	v_fmac_f32_e32 v39, v33, v24
	v_div_fmas_f32 v21, v21, v27, v34
	s_delay_alu instid0(VALU_DEP_4)
	v_fma_f32 v23, -v26, v38, v32
	v_fmac_f32_e32 v40, v22, v36
	s_mov_b32 vcc_lo, s2
	v_fma_f32 v22, -v28, v39, v35
	v_div_fixup_f32 v16, v21, v16, 1.0
	v_div_fmas_f32 v23, v23, v29, v38
	v_fma_f32 v25, -v31, v40, v37
	s_mov_b32 vcc_lo, s3
	v_div_fmas_f32 v22, v22, v24, v39
	s_mov_b32 vcc_lo, s4
	v_div_fixup_f32 v17, v23, v17, 1.0
	v_div_fmas_f32 v24, v25, v36, v40
	s_delay_alu instid0(VALU_DEP_3) | instskip(NEXT) | instid1(VALU_DEP_2)
	v_div_fixup_f32 v18, v22, v18, 1.0
	v_div_fixup_f32 v19, v24, v19, 1.0
.LBB21_6:
	s_wait_loadcnt 0x10
	v_dual_mov_b32 v38, v0 :: v_dual_mov_b32 v37, v1
	s_wait_loadcnt 0xe
	v_dual_mov_b32 v20, v4 :: v_dual_mov_b32 v21, v5
	;; [unrolled: 2-line block ×9, first 2 shown]
.LBB21_7:
	s_lshr_b32 s17, s5, 8
	s_cmp_gt_i32 s21, 0
	s_mov_b32 s1, 0
	s_cbranch_scc1 .LBB21_9
; %bb.8:
	s_bitcmp1_b32 s17, 0
	s_cselect_b32 s19, -1, 0
	s_branch .LBB21_10
.LBB21_9:
	s_mov_b32 s1, -1
                                        ; implicit-def: $sgpr19
.LBB21_10:
	v_dual_add_nc_u32 v92, 32, v75 :: v_dual_add_nc_u32 v91, 64, v75
	v_add_nc_u32_e32 v90, 0x60, v75
	v_add_nc_u32_e32 v89, 0x80, v75
	;; [unrolled: 1-line block ×15, first 2 shown]
	v_mbcnt_lo_u32_b32 v71, -1, 0
	s_and_not1_b32 vcc_lo, exec_lo, s1
	s_mov_b32 s20, 0
	s_cbranch_vccnz .LBB21_37
; %bb.11:
	s_delay_alu instid0(VALU_DEP_1)
	v_xor_b32_e32 v1, 8, v71
	s_bitcmp1_b32 s17, 0
	v_lshl_add_u64 v[72:73], v[2:3], 2, s[6:7]
	s_wait_loadcnt 0x10
	v_cmp_o_f32_e32 vcc_lo, v37, v37
	s_wait_loadcnt 0xf
	v_cmp_o_f32_e64 s1, v20, v20
	v_cmp_gt_i32_e64 s17, 32, v1
	v_xor_b32_e32 v0, 16, v71
	s_wait_loadcnt 0xe
	v_cmp_o_f32_e64 s2, v21, v21
	s_wait_loadcnt 0xd
	v_cmp_o_f32_e64 s3, v22, v22
	;; [unrolled: 2-line block ×3, first 2 shown]
	v_cndmask_b32_e64 v1, v71, v1, s17
	v_cmp_gt_i32_e64 s16, 32, v0
	s_wait_loadcnt 0xb
	v_cmp_o_f32_e64 s5, v24, v24
	s_wait_loadcnt 0xa
	v_cmp_o_f32_e64 s6, v25, v25
	;; [unrolled: 2-line block ×3, first 2 shown]
	v_dual_cndmask_b32 v0, v71, v0, s16 :: v_dual_bitop2_b32 v2, 2, v71 bitop3:0x14
	s_wait_loadcnt 0x8
	v_cmp_o_f32_e64 s8, v27, v27
	s_wait_loadcnt 0x7
	v_cmp_o_f32_e64 s9, v28, v28
	;; [unrolled: 2-line block ×4, first 2 shown]
	v_dual_lshlrev_b32 v93, 2, v0 :: v_dual_bitop2_b32 v0, 4, v71 bitop3:0x14
	s_wait_loadcnt 0x4
	v_cmp_o_f32_e64 s12, v31, v31
	s_wait_loadcnt 0x3
	v_cmp_o_f32_e64 s13, v34, v34
	;; [unrolled: 2-line block ×4, first 2 shown]
	v_cmp_gt_i32_e64 s17, 32, v0
	v_xor_b32_e32 v3, 1, v71
	s_wait_loadcnt 0x0
	v_cmp_o_f32_e64 s16, v35, v35
	v_cndmask_b32_e32 v19, 0xff7fffff, v37, vcc_lo
	v_cndmask_b32_e64 v20, 0xff7fffff, v20, s1
	v_cndmask_b32_e64 v0, v71, v0, s17
	v_cmp_gt_i32_e64 s17, 32, v2
	v_mov_b32_e32 v32, 0
	v_cndmask_b32_e64 v21, 0xff7fffff, v21, s2
	v_cndmask_b32_e64 v22, 0xff7fffff, v22, s3
	s_delay_alu instid0(VALU_DEP_4) | instskip(SKIP_3) | instid1(VALU_DEP_3)
	v_dual_lshlrev_b32 v95, 2, v0 :: v_dual_cndmask_b32 v2, v71, v2, s17
	v_cmp_gt_i32_e64 s17, 32, v3
	v_dual_lshlrev_b32 v94, 2, v1 :: v_dual_mov_b32 v0, 0
	v_dual_mov_b32 v1, v32 :: v_dual_mov_b32 v4, v32
	v_dual_mov_b32 v5, v32 :: v_dual_cndmask_b32 v3, v71, v3, s17
	v_cmp_o_f32_e64 s17, v38, v38
	v_dual_lshlrev_b32 v96, 2, v2 :: v_dual_mov_b32 v2, v32
	v_dual_mov_b32 v6, v32 :: v_dual_mov_b32 v7, v32
	s_delay_alu instid0(VALU_DEP_4)
	v_dual_lshlrev_b32 v97, 2, v3 :: v_dual_mov_b32 v3, v32
	v_dual_mov_b32 v8, v32 :: v_dual_mov_b32 v9, v32
	v_dual_mov_b32 v10, v32 :: v_dual_mov_b32 v11, v32
	;; [unrolled: 1-line block ×5, first 2 shown]
	v_cndmask_b32_e64 v18, 0xff7fffff, v38, s17
	v_cndmask_b32_e64 v23, 0xff7fffff, v23, s4
	;; [unrolled: 1-line block ×14, first 2 shown]
	s_cselect_b32 s19, -1, 0
	s_branch .LBB21_13
.LBB21_12:                              ;   in Loop: Header=BB21_13 Depth=1
	s_wait_xcnt 0x0
	s_or_b32 exec_lo, exec_lo, s1
	s_wait_dscnt 0x0
	v_mov_b64_e32 v[68:69], v[30:31]
	v_mov_b64_e32 v[38:39], v[0:1]
	s_and_b32 s1, s20, 31
	s_lshr_b32 m0, s20, 5
	v_cmp_eq_u32_e32 vcc_lo, s1, v75
	v_add_nc_u64_e32 v[72:73], 4, v[72:73]
	v_mov_b64_e32 v[66:67], v[28:29]
	v_mov_b64_e32 v[64:65], v[26:27]
	;; [unrolled: 1-line block ×14, first 2 shown]
	v_movreld_b32_e32 v38, v37
	v_dual_cndmask_b32 v17, v17, v55 :: v_dual_cndmask_b32 v16, v16, v54
	v_dual_cndmask_b32 v15, v15, v53 :: v_dual_cndmask_b32 v14, v14, v52
	;; [unrolled: 1-line block ×9, first 2 shown]
	s_add_co_i32 s20, s20, 1
	s_delay_alu instid0(SALU_CYCLE_1)
	s_cmp_eq_u32 s21, s20
	s_cbranch_scc1 .LBB21_38
.LBB21_13:                              ; =>This Inner Loop Header: Depth=1
	v_cmp_gt_f32_e32 vcc_lo, v19, v18
	s_mov_b32 s3, exec_lo
	v_dual_cndmask_b32 v37, v18, v19 :: v_dual_cndmask_b32 v38, v75, v92
	s_delay_alu instid0(VALU_DEP_1) | instskip(NEXT) | instid1(VALU_DEP_1)
	v_cmp_gt_f32_e64 s1, v20, v37
	v_dual_cndmask_b32 v37, v37, v20, s1 :: v_dual_cndmask_b32 v38, v38, v91, s1
	s_delay_alu instid0(VALU_DEP_1) | instskip(NEXT) | instid1(VALU_DEP_2)
	v_cmp_gt_f32_e32 vcc_lo, v21, v37
	v_dual_cndmask_b32 v37, v37, v21 :: v_dual_cndmask_b32 v38, v38, v90
	s_delay_alu instid0(VALU_DEP_1) | instskip(NEXT) | instid1(VALU_DEP_2)
	v_cmp_gt_f32_e32 vcc_lo, v22, v37
	v_dual_cndmask_b32 v37, v37, v22 :: v_dual_cndmask_b32 v38, v38, v89
	;; [unrolled: 3-line block ×15, first 2 shown]
	ds_bpermute_b32 v39, v93, v37
	ds_bpermute_b32 v40, v93, v38
	s_wait_dscnt 0x1
	v_cmp_lt_f32_e64 s2, v37, v39
	v_cmpx_nlt_f32_e32 v37, v39
	s_cbranch_execz .LBB21_15
; %bb.14:                               ;   in Loop: Header=BB21_13 Depth=1
	v_cmp_eq_f32_e32 vcc_lo, v37, v39
	s_wait_dscnt 0x0
	v_cmp_lt_i32_e64 s1, v40, v38
	s_and_not1_b32 s2, s2, exec_lo
	s_and_b32 s1, vcc_lo, s1
	s_delay_alu instid0(SALU_CYCLE_1) | instskip(NEXT) | instid1(SALU_CYCLE_1)
	s_and_b32 s1, s1, exec_lo
	s_or_b32 s2, s2, s1
.LBB21_15:                              ;   in Loop: Header=BB21_13 Depth=1
	s_or_b32 exec_lo, exec_lo, s3
	s_and_saveexec_b32 s1, s2
	s_cbranch_execz .LBB21_17
; %bb.16:                               ;   in Loop: Header=BB21_13 Depth=1
	s_wait_dscnt 0x0
	v_dual_mov_b32 v37, v39 :: v_dual_mov_b32 v38, v40
.LBB21_17:                              ;   in Loop: Header=BB21_13 Depth=1
	s_or_b32 exec_lo, exec_lo, s1
	s_wait_dscnt 0x0
	ds_bpermute_b32 v40, v94, v37
	ds_bpermute_b32 v39, v94, v38
	s_mov_b32 s3, exec_lo
	s_wait_dscnt 0x1
	v_cmp_lt_f32_e64 s2, v37, v40
	v_cmpx_nlt_f32_e32 v37, v40
	s_cbranch_execz .LBB21_19
; %bb.18:                               ;   in Loop: Header=BB21_13 Depth=1
	v_cmp_eq_f32_e32 vcc_lo, v37, v40
	s_wait_dscnt 0x0
	v_cmp_lt_i32_e64 s1, v39, v38
	s_and_not1_b32 s2, s2, exec_lo
	s_and_b32 s1, vcc_lo, s1
	s_delay_alu instid0(SALU_CYCLE_1) | instskip(NEXT) | instid1(SALU_CYCLE_1)
	s_and_b32 s1, s1, exec_lo
	s_or_b32 s2, s2, s1
.LBB21_19:                              ;   in Loop: Header=BB21_13 Depth=1
	s_or_b32 exec_lo, exec_lo, s3
	s_and_saveexec_b32 s1, s2
	s_cbranch_execz .LBB21_21
; %bb.20:                               ;   in Loop: Header=BB21_13 Depth=1
	s_wait_dscnt 0x0
	v_dual_mov_b32 v37, v40 :: v_dual_mov_b32 v38, v39
.LBB21_21:                              ;   in Loop: Header=BB21_13 Depth=1
	s_or_b32 exec_lo, exec_lo, s1
	ds_bpermute_b32 v40, v95, v37
	s_wait_dscnt 0x1
	ds_bpermute_b32 v39, v95, v38
	s_mov_b32 s3, exec_lo
	s_wait_dscnt 0x1
	v_cmp_lt_f32_e64 s2, v37, v40
	v_cmpx_nlt_f32_e32 v37, v40
	s_cbranch_execz .LBB21_23
; %bb.22:                               ;   in Loop: Header=BB21_13 Depth=1
	v_cmp_eq_f32_e32 vcc_lo, v37, v40
	s_wait_dscnt 0x0
	v_cmp_lt_i32_e64 s1, v39, v38
	s_and_not1_b32 s2, s2, exec_lo
	s_and_b32 s1, vcc_lo, s1
	s_delay_alu instid0(SALU_CYCLE_1) | instskip(NEXT) | instid1(SALU_CYCLE_1)
	s_and_b32 s1, s1, exec_lo
	s_or_b32 s2, s2, s1
.LBB21_23:                              ;   in Loop: Header=BB21_13 Depth=1
	s_or_b32 exec_lo, exec_lo, s3
	s_and_saveexec_b32 s1, s2
	s_cbranch_execz .LBB21_25
; %bb.24:                               ;   in Loop: Header=BB21_13 Depth=1
	s_wait_dscnt 0x0
	v_dual_mov_b32 v37, v40 :: v_dual_mov_b32 v38, v39
.LBB21_25:                              ;   in Loop: Header=BB21_13 Depth=1
	s_or_b32 exec_lo, exec_lo, s1
	ds_bpermute_b32 v40, v96, v37
	s_wait_dscnt 0x1
	ds_bpermute_b32 v39, v96, v38
	s_mov_b32 s3, exec_lo
	s_wait_dscnt 0x1
	v_cmp_lt_f32_e64 s2, v37, v40
	v_cmpx_nlt_f32_e32 v37, v40
	s_cbranch_execz .LBB21_27
; %bb.26:                               ;   in Loop: Header=BB21_13 Depth=1
	v_cmp_eq_f32_e32 vcc_lo, v37, v40
	s_wait_dscnt 0x0
	v_cmp_lt_i32_e64 s1, v39, v38
	s_and_not1_b32 s2, s2, exec_lo
	s_and_b32 s1, vcc_lo, s1
	s_delay_alu instid0(SALU_CYCLE_1) | instskip(NEXT) | instid1(SALU_CYCLE_1)
	s_and_b32 s1, s1, exec_lo
	s_or_b32 s2, s2, s1
.LBB21_27:                              ;   in Loop: Header=BB21_13 Depth=1
	s_or_b32 exec_lo, exec_lo, s3
	s_and_saveexec_b32 s1, s2
	s_cbranch_execz .LBB21_29
; %bb.28:                               ;   in Loop: Header=BB21_13 Depth=1
	s_wait_dscnt 0x0
	v_dual_mov_b32 v37, v40 :: v_dual_mov_b32 v38, v39
.LBB21_29:                              ;   in Loop: Header=BB21_13 Depth=1
	s_or_b32 exec_lo, exec_lo, s1
	s_wait_dscnt 0x0
	ds_bpermute_b32 v39, v97, v37
	ds_bpermute_b32 v40, v97, v38
	s_mov_b32 s3, exec_lo
	s_wait_dscnt 0x1
	v_cmp_lt_f32_e64 s2, v37, v39
	v_cmpx_nlt_f32_e32 v37, v39
	s_cbranch_execz .LBB21_31
; %bb.30:                               ;   in Loop: Header=BB21_13 Depth=1
	v_cmp_eq_f32_e32 vcc_lo, v37, v39
	s_wait_dscnt 0x0
	v_cmp_lt_i32_e64 s1, v40, v38
	s_and_not1_b32 s2, s2, exec_lo
	s_and_b32 s1, vcc_lo, s1
	s_delay_alu instid0(SALU_CYCLE_1) | instskip(NEXT) | instid1(SALU_CYCLE_1)
	s_and_b32 s1, s1, exec_lo
	s_or_b32 s2, s2, s1
.LBB21_31:                              ;   in Loop: Header=BB21_13 Depth=1
	s_or_b32 exec_lo, exec_lo, s3
	s_and_saveexec_b32 s1, s2
	s_cbranch_execz .LBB21_33
; %bb.32:                               ;   in Loop: Header=BB21_13 Depth=1
	s_wait_dscnt 0x0
	v_dual_mov_b32 v37, v39 :: v_dual_mov_b32 v38, v40
.LBB21_33:                              ;   in Loop: Header=BB21_13 Depth=1
	s_or_b32 exec_lo, exec_lo, s1
	s_delay_alu instid0(VALU_DEP_1) | instskip(NEXT) | instid1(VALU_DEP_1)
	v_and_b32_e32 v39, 31, v38
	v_cmp_eq_u32_e32 vcc_lo, v39, v75
	s_and_saveexec_b32 s24, vcc_lo
	s_cbranch_execz .LBB21_35
; %bb.34:                               ;   in Loop: Header=BB21_13 Depth=1
	v_ashrrev_i32_e32 v39, 31, v38
	s_delay_alu instid0(VALU_DEP_1) | instskip(NEXT) | instid1(VALU_DEP_1)
	v_lshrrev_b32_e32 v39, 27, v39
	v_add_nc_u32_e32 v39, v38, v39
	s_delay_alu instid0(VALU_DEP_1) | instskip(NEXT) | instid1(VALU_DEP_1)
	v_ashrrev_i32_e32 v39, 5, v39
	v_cmp_ne_u32_e64 s1, 16, v39
	v_cmp_ne_u32_e64 s2, 15, v39
	;; [unrolled: 1-line block ×18, first 2 shown]
	v_cndmask_b32_e64 v36, 0xff800000, v36, s1
	v_cndmask_b32_e64 v33, 0xff800000, v33, s2
	;; [unrolled: 1-line block ×18, first 2 shown]
.LBB21_35:                              ;   in Loop: Header=BB21_13 Depth=1
	s_or_b32 exec_lo, exec_lo, s24
	s_and_saveexec_b32 s1, vcc_lo
	s_cbranch_execz .LBB21_12
; %bb.36:                               ;   in Loop: Header=BB21_13 Depth=1
	v_add_f32_e32 v39, v32, v37
	global_store_b32 v[72:73], v38, off
	v_cndmask_b32_e64 v32, v32, v39, s19
	s_branch .LBB21_12
.LBB21_37:
	v_mov_b32_e32 v32, 0
	s_wait_loadcnt 0x2
	s_delay_alu instid0(VALU_DEP_1)
	v_dual_mov_b32 v33, v32 :: v_dual_mov_b32 v34, v32
	s_wait_loadcnt 0x0
	v_dual_mov_b32 v35, v32 :: v_dual_mov_b32 v36, v32
	v_dual_mov_b32 v37, v32 :: v_dual_mov_b32 v38, v32
	;; [unrolled: 1-line block ×7, first 2 shown]
	v_mov_b32_e32 v49, v32
	v_mov_b64_e32 v[0:1], v[32:33]
	v_mov_b64_e32 v[2:3], v[34:35]
	;; [unrolled: 1-line block ×16, first 2 shown]
.LBB21_38:
	s_and_b32 vcc_lo, exec_lo, s19
	s_cbranch_vccz .LBB21_40
; %bb.39:
	v_xor_b32_e32 v20, 4, v71
	v_xor_b32_e32 v18, 16, v71
	;; [unrolled: 1-line block ×3, first 2 shown]
	s_delay_alu instid0(VALU_DEP_2) | instskip(SKIP_1) | instid1(VALU_DEP_3)
	v_cmp_gt_i32_e32 vcc_lo, 32, v18
	v_cndmask_b32_e32 v18, v71, v18, vcc_lo
	v_cmp_gt_i32_e32 vcc_lo, 32, v19
	s_delay_alu instid0(VALU_DEP_2)
	v_dual_cndmask_b32 v19, v71, v19 :: v_dual_lshlrev_b32 v18, 2, v18
	v_cmp_gt_i32_e32 vcc_lo, 32, v20
	ds_bpermute_b32 v18, v18, v32
	v_dual_cndmask_b32 v20, v71, v20 :: v_dual_lshlrev_b32 v19, 2, v19
	s_wait_dscnt 0x0
	v_add_f32_e32 v18, v32, v18
	ds_bpermute_b32 v19, v19, v18
	s_wait_dscnt 0x0
	v_dual_lshlrev_b32 v20, 2, v20 :: v_dual_add_f32 v18, v18, v19
	ds_bpermute_b32 v19, v20, v18
	v_xor_b32_e32 v20, 2, v71
	s_delay_alu instid0(VALU_DEP_1) | instskip(SKIP_2) | instid1(VALU_DEP_1)
	v_cmp_gt_i32_e32 vcc_lo, 32, v20
	s_wait_dscnt 0x0
	v_dual_cndmask_b32 v20, v71, v20, vcc_lo :: v_dual_add_f32 v18, v18, v19
	v_lshlrev_b32_e32 v20, 2, v20
	ds_bpermute_b32 v19, v20, v18
	v_xor_b32_e32 v20, 1, v71
	s_delay_alu instid0(VALU_DEP_1) | instskip(SKIP_2) | instid1(VALU_DEP_1)
	v_cmp_gt_i32_e32 vcc_lo, 32, v20
	s_wait_dscnt 0x0
	v_dual_add_f32 v18, v18, v19 :: v_dual_cndmask_b32 v20, v71, v20, vcc_lo
	v_lshlrev_b32_e32 v20, 2, v20
	ds_bpermute_b32 v19, v20, v18
	v_max_num_f32_e64 v20, s22, s22
	s_wait_dscnt 0x0
	v_add_f32_e32 v18, v18, v19
	s_delay_alu instid0(VALU_DEP_1) | instskip(NEXT) | instid1(VALU_DEP_1)
	v_max_num_f32_e32 v18, v18, v20
	v_div_scale_f32 v19, null, v18, v18, 1.0
	s_delay_alu instid0(VALU_DEP_1) | instskip(SKIP_1) | instid1(TRANS32_DEP_1)
	v_rcp_f32_e32 v20, v19
	v_nop
	v_fma_f32 v21, -v19, v20, 1.0
	s_delay_alu instid0(VALU_DEP_1) | instskip(SKIP_1) | instid1(VALU_DEP_1)
	v_fmac_f32_e32 v20, v21, v20
	v_div_scale_f32 v22, vcc_lo, 1.0, v18, 1.0
	v_mul_f32_e32 v21, v22, v20
	s_delay_alu instid0(VALU_DEP_1) | instskip(NEXT) | instid1(VALU_DEP_1)
	v_fma_f32 v23, -v19, v21, v22
	v_fmac_f32_e32 v21, v23, v20
	s_delay_alu instid0(VALU_DEP_1) | instskip(NEXT) | instid1(VALU_DEP_1)
	v_fma_f32 v19, -v19, v21, v22
	v_div_fmas_f32 v19, v19, v20, v21
	s_delay_alu instid0(VALU_DEP_1) | instskip(NEXT) | instid1(VALU_DEP_1)
	v_div_fixup_f32 v18, v19, v18, 1.0
	v_pk_mul_f32 v[16:17], v[18:19], v[16:17] op_sel_hi:[0,1]
	v_pk_mul_f32 v[14:15], v[18:19], v[14:15] op_sel_hi:[0,1]
	;; [unrolled: 1-line block ×9, first 2 shown]
.LBB21_40:
	v_cmp_gt_i32_e64 s1, s21, v92
	v_cmp_gt_i32_e64 s2, s21, v91
	;; [unrolled: 1-line block ×18, first 2 shown]
	s_and_not1_b32 vcc_lo, exec_lo, s0
	s_cbranch_vccnz .LBB21_42
; %bb.41:
	v_dual_max_num_f32 v18, v0, v0 :: v_dual_max_num_f32 v19, v1, v1
	v_dual_max_num_f32 v20, v2, v2 :: v_dual_bitop2_b32 v24, 1, v71 bitop3:0x14
	v_xor_b32_e32 v22, 4, v71
	s_delay_alu instid0(VALU_DEP_3) | instskip(NEXT) | instid1(VALU_DEP_1)
	v_max_num_f32_e32 v18, 0xff800000, v18
	v_cndmask_b32_e64 v18, 0xff800000, v18, s18
	s_delay_alu instid0(VALU_DEP_1) | instskip(NEXT) | instid1(VALU_DEP_1)
	v_max_num_f32_e32 v19, v18, v19
	v_cndmask_b32_e64 v18, v18, v19, s1
	s_delay_alu instid0(VALU_DEP_1) | instskip(NEXT) | instid1(VALU_DEP_1)
	v_dual_max_num_f32 v19, v18, v20 :: v_dual_max_num_f32 v20, v3, v3
	v_cndmask_b32_e64 v18, v18, v19, s2
	s_delay_alu instid0(VALU_DEP_1) | instskip(NEXT) | instid1(VALU_DEP_1)
	v_max_num_f32_e32 v19, v18, v20
	v_dual_max_num_f32 v20, v4, v4 :: v_dual_cndmask_b32 v18, v18, v19, s3
	s_delay_alu instid0(VALU_DEP_1) | instskip(NEXT) | instid1(VALU_DEP_1)
	v_max_num_f32_e32 v19, v18, v20
	v_dual_cndmask_b32 v18, v18, v19, s4 :: v_dual_max_num_f32 v19, v5, v5
	s_delay_alu instid0(VALU_DEP_1) | instskip(NEXT) | instid1(VALU_DEP_1)
	v_max_num_f32_e32 v20, v18, v18
	v_max_num_f32_e32 v19, v20, v19
	s_delay_alu instid0(VALU_DEP_1) | instskip(SKIP_1) | instid1(VALU_DEP_2)
	v_cndmask_b32_e64 v18, v18, v19, s5
	v_max_num_f32_e32 v19, v6, v6
	v_max_num_f32_e32 v20, v18, v18
	s_delay_alu instid0(VALU_DEP_1) | instskip(NEXT) | instid1(VALU_DEP_1)
	v_max_num_f32_e32 v19, v20, v19
	v_cndmask_b32_e64 v18, v18, v19, s6
	s_delay_alu instid0(VALU_DEP_1) | instskip(NEXT) | instid1(VALU_DEP_1)
	v_dual_max_num_f32 v19, v7, v7 :: v_dual_max_num_f32 v20, v18, v18
	v_max_num_f32_e32 v19, v20, v19
	s_delay_alu instid0(VALU_DEP_1) | instskip(NEXT) | instid1(VALU_DEP_1)
	v_dual_cndmask_b32 v18, v18, v19, s7 :: v_dual_max_num_f32 v19, v8, v8
	v_max_num_f32_e32 v20, v18, v18
	s_delay_alu instid0(VALU_DEP_1) | instskip(NEXT) | instid1(VALU_DEP_1)
	v_max_num_f32_e32 v19, v20, v19
	v_dual_cndmask_b32 v18, v18, v19, s8 :: v_dual_max_num_f32 v19, v9, v9
	s_delay_alu instid0(VALU_DEP_1) | instskip(NEXT) | instid1(VALU_DEP_1)
	v_max_num_f32_e32 v20, v18, v18
	v_max_num_f32_e32 v19, v20, v19
	s_delay_alu instid0(VALU_DEP_1) | instskip(SKIP_1) | instid1(VALU_DEP_2)
	v_cndmask_b32_e64 v18, v18, v19, s9
	v_max_num_f32_e32 v19, v10, v10
	v_max_num_f32_e32 v20, v18, v18
	s_delay_alu instid0(VALU_DEP_1) | instskip(NEXT) | instid1(VALU_DEP_1)
	v_max_num_f32_e32 v19, v20, v19
	v_cndmask_b32_e64 v18, v18, v19, s10
	s_delay_alu instid0(VALU_DEP_1) | instskip(NEXT) | instid1(VALU_DEP_1)
	v_dual_max_num_f32 v19, v11, v11 :: v_dual_max_num_f32 v20, v18, v18
	v_max_num_f32_e32 v19, v20, v19
	s_delay_alu instid0(VALU_DEP_1) | instskip(NEXT) | instid1(VALU_DEP_1)
	v_dual_cndmask_b32 v18, v18, v19, s11 :: v_dual_max_num_f32 v19, v12, v12
	v_max_num_f32_e32 v20, v18, v18
	;; [unrolled: 19-line block ×3, first 2 shown]
	s_delay_alu instid0(VALU_DEP_1) | instskip(NEXT) | instid1(VALU_DEP_1)
	v_dual_max_num_f32 v19, v20, v19 :: v_dual_max_num_f32 v20, v17, v17
	v_cndmask_b32_e64 v18, v18, v19, s16
	s_delay_alu instid0(VALU_DEP_1) | instskip(NEXT) | instid1(VALU_DEP_1)
	v_max_num_f32_e32 v21, v18, v18
	v_dual_max_num_f32 v20, v21, v20 :: v_dual_bitop2_b32 v19, 16, v71 bitop3:0x14
	s_delay_alu instid0(VALU_DEP_1) | instskip(NEXT) | instid1(VALU_DEP_2)
	v_dual_cndmask_b32 v18, v18, v20, s17 :: v_dual_bitop2_b32 v21, 8, v71 bitop3:0x14
	v_cmp_gt_i32_e32 vcc_lo, 32, v19
	v_cndmask_b32_e32 v19, v71, v19, vcc_lo
	s_delay_alu instid0(VALU_DEP_3) | instskip(NEXT) | instid1(VALU_DEP_2)
	v_cmp_gt_i32_e32 vcc_lo, 32, v21
	v_dual_cndmask_b32 v21, v71, v21, vcc_lo :: v_dual_lshlrev_b32 v19, 2, v19
	v_cmp_gt_i32_e32 vcc_lo, 32, v22
	s_delay_alu instid0(VALU_DEP_2) | instskip(SKIP_3) | instid1(VALU_DEP_1)
	v_lshlrev_b32_e32 v21, 2, v21
	ds_bpermute_b32 v20, v19, v18
	s_wait_dscnt 0x0
	v_dual_max_num_f32 v18, v18, v18 :: v_dual_max_num_f32 v20, v20, v20
	v_max_num_f32_e32 v18, v18, v20
	ds_bpermute_b32 v20, v21, v18
	s_wait_dscnt 0x0
	v_dual_cndmask_b32 v22, v71, v22, vcc_lo :: v_dual_max_num_f32 v20, v20, v20
	s_delay_alu instid0(VALU_DEP_1) | instskip(SKIP_3) | instid1(VALU_DEP_1)
	v_dual_lshlrev_b32 v22, 2, v22 :: v_dual_max_num_f32 v18, v18, v20
	ds_bpermute_b32 v20, v22, v18
	s_wait_dscnt 0x0
	v_dual_max_num_f32 v20, v20, v20 :: v_dual_bitop2_b32 v23, 2, v71 bitop3:0x14
	v_cmp_gt_i32_e32 vcc_lo, 32, v23
	s_delay_alu instid0(VALU_DEP_2) | instskip(SKIP_1) | instid1(VALU_DEP_2)
	v_dual_max_num_f32 v18, v18, v20 :: v_dual_cndmask_b32 v23, v71, v23
	v_cmp_gt_i32_e32 vcc_lo, 32, v24
	v_dual_cndmask_b32 v24, v71, v24 :: v_dual_lshlrev_b32 v23, 2, v23
	ds_bpermute_b32 v20, v23, v18
	v_lshlrev_b32_e32 v24, 2, v24
	s_wait_dscnt 0x0
	v_max_num_f32_e32 v20, v20, v20
	s_delay_alu instid0(VALU_DEP_1) | instskip(SKIP_3) | instid1(VALU_DEP_1)
	v_max_num_f32_e32 v18, v18, v20
	ds_bpermute_b32 v20, v24, v18
	s_wait_dscnt 0x0
	v_max_num_f32_e32 v20, v20, v20
	v_max_num_f32_e32 v18, v18, v20
	s_delay_alu instid0(VALU_DEP_1) | instskip(NEXT) | instid1(VALU_DEP_1)
	v_sub_f32_e32 v2, v2, v18
	v_mul_f32_e32 v25, 0x3fb8aa3b, v2
	v_dual_sub_f32 v0, v0, v18 :: v_dual_sub_f32 v1, v1, v18
	v_dual_sub_f32 v3, v3, v18 :: v_dual_sub_f32 v4, v4, v18
	;; [unrolled: 1-line block ×8, first 2 shown]
	v_dual_sub_f32 v17, v17, v18 :: v_dual_mul_f32 v18, 0x3fb8aa3b, v0
	v_dual_mul_f32 v20, 0x3fb8aa3b, v1 :: v_dual_mul_f32 v27, 0x3fb8aa3b, v4
	v_dual_mul_f32 v26, 0x3fb8aa3b, v3 :: v_dual_mul_f32 v29, 0x3fb8aa3b, v6
	s_delay_alu instid0(VALU_DEP_3) | instskip(SKIP_1) | instid1(VALU_DEP_4)
	v_fma_f32 v41, 0x3fb8aa3b, v0, -v18
	v_rndne_f32_e32 v42, v18
	v_fma_f32 v43, 0x3fb8aa3b, v1, -v20
	v_rndne_f32_e32 v44, v20
	v_fma_f32 v49, 0x3fb8aa3b, v4, -v27
	s_delay_alu instid0(VALU_DEP_4) | instskip(SKIP_1) | instid1(VALU_DEP_4)
	v_dual_fmac_f32 v41, 0x32a5705f, v0 :: v_dual_sub_f32 v18, v18, v42
	v_rndne_f32_e32 v54, v29
	v_dual_fmac_f32 v43, 0x32a5705f, v1 :: v_dual_sub_f32 v20, v20, v44
	s_delay_alu instid0(VALU_DEP_3) | instskip(SKIP_1) | instid1(VALU_DEP_3)
	v_dual_fmac_f32 v49, 0x32a5705f, v4 :: v_dual_add_f32 v18, v18, v41
	v_fma_f32 v53, 0x3fb8aa3b, v6, -v29
	v_dual_sub_f32 v29, v29, v54 :: v_dual_add_f32 v20, v20, v43
	v_dual_mul_f32 v28, 0x3fb8aa3b, v5 :: v_dual_mul_f32 v31, 0x3fb8aa3b, v8
	s_delay_alu instid0(VALU_DEP_4)
	v_exp_f32_e32 v18, v18
	v_cvt_i32_f32_e32 v42, v42
	v_fma_f32 v45, 0x3fb8aa3b, v2, -v25
	v_rndne_f32_e32 v46, v25
	v_exp_f32_e32 v20, v20
	v_dual_mul_f32 v30, 0x3fb8aa3b, v7 :: v_dual_mul_f32 v33, 0x3fb8aa3b, v10
	v_fma_f32 v57, 0x3fb8aa3b, v8, -v31
	v_cvt_i32_f32_e32 v44, v44
	v_ldexp_f32 v18, v18, v42
	v_cmp_ngt_f32_e32 vcc_lo, 0xc2ce8ed0, v0
	v_dual_mul_f32 v38, 0x3fb8aa3b, v15 :: v_dual_sub_f32 v25, v25, v46
	v_rndne_f32_e32 v48, v26
	v_rndne_f32_e32 v58, v31
	v_fmac_f32_e32 v45, 0x32a5705f, v2
	v_fma_f32 v61, 0x3fb8aa3b, v10, -v33
	v_dual_fmac_f32 v57, 0x32a5705f, v8 :: v_dual_cndmask_b32 v18, 0, v18
	v_ldexp_f32 v20, v20, v44
	v_cmp_ngt_f32_e32 vcc_lo, 0xc2ce8ed0, v1
	v_dual_mul_f32 v32, 0x3fb8aa3b, v9 :: v_dual_mul_f32 v35, 0x3fb8aa3b, v12
	v_fma_f32 v47, 0x3fb8aa3b, v3, -v26
	v_dual_sub_f32 v26, v26, v48 :: v_dual_sub_f32 v31, v31, v58
	v_add_f32_e32 v25, v25, v45
	v_dual_mul_f32 v36, 0x3fb8aa3b, v13 :: v_dual_mul_f32 v39, 0x3fb8aa3b, v16
	v_dual_fmac_f32 v61, 0x32a5705f, v10 :: v_dual_cndmask_b32 v20, 0, v20
	v_cmp_nlt_f32_e32 vcc_lo, 0x42b17218, v0
	v_rndne_f32_e32 v52, v28
	v_fma_f32 v59, 0x3fb8aa3b, v9, -v32
	v_fmac_f32_e32 v47, 0x32a5705f, v3
	v_exp_f32_e32 v25, v25
	v_rndne_f32_e32 v68, v36
	v_cvt_i32_f32_e32 v46, v46
	v_cndmask_b32_e32 v0, 0x7f800000, v18, vcc_lo
	v_cmp_nlt_f32_e32 vcc_lo, 0x42b17218, v1
	v_dual_mul_f32 v34, 0x3fb8aa3b, v11 :: v_dual_mul_f32 v37, 0x3fb8aa3b, v14
	v_rndne_f32_e32 v50, v27
	v_fma_f32 v51, 0x3fb8aa3b, v5, -v28
	v_dual_sub_f32 v28, v28, v52 :: v_dual_fmac_f32 v59, 0x32a5705f, v9
	v_add_f32_e32 v26, v26, v47
	v_rndne_f32_e32 v66, v35
	v_ldexp_f32 v25, v25, v46
	v_cndmask_b32_e32 v1, 0x7f800000, v20, vcc_lo
	v_cmp_ngt_f32_e32 vcc_lo, 0xc2ce8ed0, v2
	v_dual_mul_f32 v40, 0x3fb8aa3b, v17 :: v_dual_sub_f32 v27, v27, v50
	v_fma_f32 v63, 0x3fb8aa3b, v11, -v34
	v_exp_f32_e32 v18, v26
	v_rndne_f32_e32 v62, v33
	v_fma_f32 v65, 0x3fb8aa3b, v12, -v35
	v_cvt_i32_f32_e32 v48, v48
	v_dual_sub_f32 v35, v35, v66 :: v_dual_cndmask_b32 v25, 0, v25, vcc_lo
	v_cmp_nlt_f32_e32 vcc_lo, 0x42b17218, v2
	v_dual_fmac_f32 v63, 0x32a5705f, v11 :: v_dual_add_f32 v20, v27, v49
	v_rndne_f32_e32 v60, v32
	v_fma_f32 v67, 0x3fb8aa3b, v13, -v36
	v_ldexp_f32 v18, v18, v48
	v_dual_cndmask_b32 v2, 0x7f800000, v25 :: v_dual_sub_f32 v27, v36, v68
	v_dual_sub_f32 v33, v33, v62 :: v_dual_cndmask_b32 v0, 0, v0, s18
	v_cmp_ngt_f32_e32 vcc_lo, 0xc2ce8ed0, v3
	v_exp_f32_e32 v20, v20
	v_fma_f32 v55, 0x3fb8aa3b, v7, -v30
	v_rndne_f32_e32 v56, v30
	v_rndne_f32_e32 v64, v34
	v_cvt_i32_f32_e32 v50, v50
	v_fmac_f32_e32 v51, 0x32a5705f, v5
	v_dual_fmac_f32 v53, 0x32a5705f, v6 :: v_dual_sub_f32 v32, v32, v60
	v_dual_fmac_f32 v67, 0x32a5705f, v13 :: v_dual_add_f32 v26, v1, v0
	v_cndmask_b32_e32 v18, 0, v18, vcc_lo
	v_cmp_nlt_f32_e32 vcc_lo, 0x42b17218, v3
	v_dual_fmac_f32 v55, 0x32a5705f, v7 :: v_dual_sub_f32 v34, v34, v64
	v_sub_f32_e32 v30, v30, v56
	v_fmac_f32_e32 v65, 0x32a5705f, v12
	v_ldexp_f32 v20, v20, v50
	v_cndmask_b32_e32 v3, 0x7f800000, v18, vcc_lo
	v_cmp_ngt_f32_e32 vcc_lo, 0xc2ce8ed0, v4
	v_cndmask_b32_e64 v25, v0, v26, s1
	v_add_f32_e32 v26, v28, v51
	v_cvt_i32_f32_e32 v52, v52
	v_rndne_f32_e32 v71, v37
	s_delay_alu instid0(VALU_DEP_4) | instskip(NEXT) | instid1(VALU_DEP_4)
	v_dual_cndmask_b32 v20, 0, v20, vcc_lo :: v_dual_add_f32 v28, v25, v2
	v_exp_f32_e32 v26, v26
	v_cmp_nlt_f32_e32 vcc_lo, 0x42b17218, v4
	v_cvt_i32_f32_e32 v54, v54
	v_cvt_i32_f32_e32 v56, v56
	v_fma_f32 v69, 0x3fb8aa3b, v14, -v37
	v_cvt_i32_f32_e32 v58, v58
	v_cndmask_b32_e32 v4, 0x7f800000, v20, vcc_lo
	v_ldexp_f32 v26, v26, v52
	v_cmp_ngt_f32_e32 vcc_lo, 0xc2ce8ed0, v5
	v_cndmask_b32_e64 v18, v25, v28, s2
	v_dual_add_f32 v25, v29, v53 :: v_dual_add_f32 v20, v30, v55
	v_fmac_f32_e32 v69, 0x32a5705f, v14
	v_cndmask_b32_e32 v26, 0, v26, vcc_lo
	v_cmp_nlt_f32_e32 vcc_lo, 0x42b17218, v5
	s_delay_alu instid0(VALU_DEP_4)
	v_exp_f32_e32 v25, v25
	v_exp_f32_e32 v20, v20
	v_add_f32_e32 v29, v18, v3
	v_cvt_i32_f32_e32 v60, v60
	v_cndmask_b32_e32 v5, 0x7f800000, v26, vcc_lo
	v_cmp_ngt_f32_e32 vcc_lo, 0xc2ce8ed0, v6
	v_add_f32_e32 v26, v31, v57
	v_ldexp_f32 v25, v25, v54
	v_ldexp_f32 v20, v20, v56
	v_cndmask_b32_e64 v18, v18, v29, s3
	v_cvt_i32_f32_e32 v41, v62
	v_exp_f32_e32 v26, v26
	v_cndmask_b32_e32 v25, 0, v25, vcc_lo
	v_cmp_nlt_f32_e32 vcc_lo, 0x42b17218, v6
	v_cvt_i32_f32_e32 v43, v64
	v_rndne_f32_e32 v94, v39
	v_cvt_i32_f32_e32 v42, v66
	v_fma_f32 v72, 0x3fb8aa3b, v15, -v38
	v_cndmask_b32_e32 v6, 0x7f800000, v25, vcc_lo
	v_cmp_ngt_f32_e32 vcc_lo, 0xc2ce8ed0, v7
	v_add_f32_e32 v25, v32, v59
	v_ldexp_f32 v26, v26, v58
	v_rndne_f32_e32 v73, v38
	v_fmac_f32_e32 v72, 0x32a5705f, v15
	v_cndmask_b32_e32 v20, 0, v20, vcc_lo
	v_cmp_nlt_f32_e32 vcc_lo, 0x42b17218, v7
	v_exp_f32_e32 v25, v25
	v_fma_f32 v93, 0x3fb8aa3b, v16, -v39
	v_rndne_f32_e32 v96, v40
	v_cvt_i32_f32_e32 v28, v68
	v_dual_cndmask_b32 v7, 0x7f800000, v20 :: v_dual_add_f32 v20, v33, v61
	v_add_f32_e32 v29, v18, v4
	v_cmp_ngt_f32_e32 vcc_lo, 0xc2ce8ed0, v8
	v_ldexp_f32 v25, v25, v60
	v_fma_f32 v95, 0x3fb8aa3b, v17, -v40
	v_exp_f32_e32 v20, v20
	v_dual_cndmask_b32 v18, v18, v29, s4 :: v_dual_cndmask_b32 v26, 0, v26, vcc_lo
	v_cmp_nlt_f32_e32 vcc_lo, 0x42b17218, v8
	v_sub_f32_e32 v29, v37, v71
	s_delay_alu instid0(VALU_DEP_3) | instskip(NEXT) | instid1(TRANS32_DEP_1)
	v_dual_fmac_f32 v93, 0x32a5705f, v16 :: v_dual_add_f32 v30, v18, v5
	v_ldexp_f32 v20, v20, v41
	v_cndmask_b32_e32 v8, 0x7f800000, v26, vcc_lo
	v_cmp_ngt_f32_e32 vcc_lo, 0xc2ce8ed0, v9
	v_add_f32_e32 v26, v34, v63
	v_cndmask_b32_e64 v18, v18, v30, s5
	v_cvt_i32_f32_e32 v30, v71
	v_dual_cndmask_b32 v3, 0, v3, s3 :: v_dual_cndmask_b32 v4, 0, v4, s4
	s_delay_alu instid0(VALU_DEP_3) | instskip(SKIP_3) | instid1(VALU_DEP_3)
	v_dual_cndmask_b32 v25, 0, v25, vcc_lo :: v_dual_add_f32 v31, v18, v6
	v_cmp_nlt_f32_e32 vcc_lo, 0x42b17218, v9
	v_exp_f32_e32 v26, v26
	v_dual_cndmask_b32 v1, 0, v1, s1 :: v_dual_cndmask_b32 v2, 0, v2, s2
	v_cndmask_b32_e64 v18, v18, v31, s6
	v_cndmask_b32_e32 v9, 0x7f800000, v25, vcc_lo
	v_cmp_ngt_f32_e32 vcc_lo, 0xc2ce8ed0, v10
	v_add_f32_e32 v25, v35, v65
	s_delay_alu instid0(TRANS32_DEP_1) | instskip(SKIP_3) | instid1(VALU_DEP_3)
	v_ldexp_f32 v26, v26, v43
	v_dual_add_f32 v31, v18, v7 :: v_dual_cndmask_b32 v5, 0, v5, s5
	v_dual_cndmask_b32 v6, 0, v6, s6 :: v_dual_cndmask_b32 v20, 0, v20, vcc_lo
	v_cmp_nlt_f32_e32 vcc_lo, 0x42b17218, v10
	v_cndmask_b32_e64 v18, v18, v31, s7
	v_exp_f32_e32 v25, v25
	s_delay_alu instid0(VALU_DEP_3) | instskip(NEXT) | instid1(VALU_DEP_2)
	v_dual_sub_f32 v31, v38, v73 :: v_dual_cndmask_b32 v10, 0x7f800000, v20
	v_dual_add_f32 v20, v27, v67 :: v_dual_add_f32 v32, v18, v8
	v_cmp_ngt_f32_e32 vcc_lo, 0xc2ce8ed0, v11
	s_delay_alu instid0(TRANS32_DEP_1) | instskip(SKIP_1) | instid1(VALU_DEP_4)
	v_ldexp_f32 v25, v25, v42
	v_cndmask_b32_e64 v8, 0, v8, s8
	v_exp_f32_e32 v20, v20
	v_dual_cndmask_b32 v18, v18, v32, s8 :: v_dual_cndmask_b32 v26, 0, v26, vcc_lo
	v_cmp_nlt_f32_e32 vcc_lo, 0x42b17218, v11
	v_cvt_i32_f32_e32 v32, v73
	s_delay_alu instid0(VALU_DEP_3) | instskip(NEXT) | instid1(TRANS32_DEP_1)
	v_add_f32_e32 v33, v18, v9
	v_ldexp_f32 v20, v20, v28
	v_cndmask_b32_e32 v11, 0x7f800000, v26, vcc_lo
	v_cmp_ngt_f32_e32 vcc_lo, 0xc2ce8ed0, v12
	v_add_f32_e32 v26, v29, v69
	v_cndmask_b32_e64 v18, v18, v33, s9
	v_cndmask_b32_e64 v9, 0, v9, s9
	v_cndmask_b32_e32 v25, 0, v25, vcc_lo
	v_cmp_nlt_f32_e32 vcc_lo, 0x42b17218, v12
	v_exp_f32_e32 v26, v26
	s_delay_alu instid0(VALU_DEP_2) | instskip(SKIP_2) | instid1(TRANS32_DEP_1)
	v_dual_cndmask_b32 v12, 0x7f800000, v25 :: v_dual_add_f32 v25, v31, v72
	v_add_f32_e32 v27, v18, v10
	v_cmp_ngt_f32_e32 vcc_lo, 0xc2ce8ed0, v13
	v_ldexp_f32 v26, v26, v30
	s_delay_alu instid0(VALU_DEP_4) | instskip(NEXT) | instid1(VALU_DEP_3)
	v_exp_f32_e32 v25, v25
	v_dual_cndmask_b32 v18, v18, v27, s10 :: v_dual_cndmask_b32 v20, 0, v20, vcc_lo
	v_cmp_nlt_f32_e32 vcc_lo, 0x42b17218, v13
	s_delay_alu instid0(VALU_DEP_2) | instskip(NEXT) | instid1(TRANS32_DEP_1)
	v_dual_sub_f32 v27, v39, v94 :: v_dual_add_f32 v29, v18, v11
	v_ldexp_f32 v25, v25, v32
	s_delay_alu instid0(VALU_DEP_2) | instskip(SKIP_1) | instid1(VALU_DEP_4)
	v_dual_cndmask_b32 v13, 0x7f800000, v20 :: v_dual_add_f32 v20, v27, v93
	v_cmp_ngt_f32_e32 vcc_lo, 0xc2ce8ed0, v14
	v_dual_cndmask_b32 v18, v18, v29, s11 :: v_dual_sub_f32 v27, v40, v96
	s_delay_alu instid0(VALU_DEP_3) | instskip(NEXT) | instid1(VALU_DEP_1)
	v_exp_f32_e32 v20, v20
	v_dual_cndmask_b32 v26, 0, v26, vcc_lo :: v_dual_add_f32 v28, v18, v12
	v_cmp_nlt_f32_e32 vcc_lo, 0x42b17218, v14
	v_dual_cndmask_b32 v10, 0, v10, s10 :: v_dual_cndmask_b32 v11, 0, v11, s11
	v_cndmask_b32_e64 v12, 0, v12, s12
	s_delay_alu instid0(VALU_DEP_4) | instskip(SKIP_2) | instid1(VALU_DEP_3)
	v_cndmask_b32_e64 v18, v18, v28, s12
	v_cndmask_b32_e32 v14, 0x7f800000, v26, vcc_lo
	v_cmp_ngt_f32_e32 vcc_lo, 0xc2ce8ed0, v15
	v_dual_add_f32 v28, v18, v13 :: v_dual_cndmask_b32 v13, 0, v13, s13
	v_cndmask_b32_e32 v25, 0, v25, vcc_lo
	v_cmp_nlt_f32_e32 vcc_lo, 0x42b17218, v15
	s_delay_alu instid0(VALU_DEP_3) | instskip(SKIP_1) | instid1(VALU_DEP_4)
	v_cndmask_b32_e64 v18, v18, v28, s13
	v_fmac_f32_e32 v95, 0x32a5705f, v17
	v_cndmask_b32_e32 v15, 0x7f800000, v25, vcc_lo
	v_cmp_ngt_f32_e32 vcc_lo, 0xc2ce8ed0, v16
	s_delay_alu instid0(VALU_DEP_3) | instskip(SKIP_2) | instid1(VALU_DEP_3)
	v_dual_add_f32 v28, v18, v14 :: v_dual_add_f32 v26, v27, v95
	v_cvt_i32_f32_e32 v27, v94
	v_cvt_i32_f32_e32 v25, v96
	v_exp_f32_e32 v26, v26
	s_delay_alu instid0(VALU_DEP_2) | instskip(NEXT) | instid1(VALU_DEP_1)
	v_ldexp_f32 v20, v20, v27
	v_cndmask_b32_e32 v20, 0, v20, vcc_lo
	v_cmp_nlt_f32_e32 vcc_lo, 0x42b17218, v16
	s_delay_alu instid0(TRANS32_DEP_1) | instskip(NEXT) | instid1(VALU_DEP_3)
	v_ldexp_f32 v25, v26, v25
	v_cndmask_b32_e32 v16, 0x7f800000, v20, vcc_lo
	v_cmp_ngt_f32_e32 vcc_lo, 0xc2ce8ed0, v17
	s_delay_alu instid0(VALU_DEP_3) | instskip(NEXT) | instid1(VALU_DEP_1)
	v_dual_cndmask_b32 v18, v18, v28, s14 :: v_dual_cndmask_b32 v20, 0, v25, vcc_lo
	v_add_f32_e32 v27, v18, v15
	v_cmp_nlt_f32_e32 vcc_lo, 0x42b17218, v17
	s_delay_alu instid0(VALU_DEP_2) | instskip(NEXT) | instid1(VALU_DEP_4)
	v_cndmask_b32_e64 v18, v18, v27, s15
	v_cndmask_b32_e32 v17, 0x7f800000, v20, vcc_lo
	s_delay_alu instid0(VALU_DEP_2) | instskip(NEXT) | instid1(VALU_DEP_1)
	v_add_f32_e32 v25, v18, v16
	v_cndmask_b32_e64 v18, v18, v25, s16
	s_delay_alu instid0(VALU_DEP_1) | instskip(NEXT) | instid1(VALU_DEP_1)
	v_add_f32_e32 v20, v18, v17
	v_cndmask_b32_e64 v18, v18, v20, s17
	ds_bpermute_b32 v19, v19, v18
	s_wait_dscnt 0x0
	v_dual_add_f32 v18, v18, v19 :: v_dual_cndmask_b32 v14, 0, v14, s14
	v_cndmask_b32_e64 v15, 0, v15, s15
	ds_bpermute_b32 v19, v21, v18
	s_wait_dscnt 0x0
	v_dual_add_f32 v18, v18, v19 :: v_dual_cndmask_b32 v17, 0, v17, s17
	ds_bpermute_b32 v19, v22, v18
	s_wait_dscnt 0x0
	v_add_f32_e32 v18, v18, v19
	ds_bpermute_b32 v19, v23, v18
	s_wait_dscnt 0x0
	v_add_f32_e32 v18, v18, v19
	;; [unrolled: 3-line block ×3, first 2 shown]
	s_delay_alu instid0(VALU_DEP_1) | instskip(SKIP_1) | instid1(VALU_DEP_2)
	v_div_scale_f32 v19, null, v18, v18, 1.0
	v_div_scale_f32 v22, vcc_lo, 1.0, v18, 1.0
	v_rcp_f32_e32 v20, v19
	v_nop
	s_delay_alu instid0(TRANS32_DEP_1) | instskip(NEXT) | instid1(VALU_DEP_1)
	v_fma_f32 v21, -v19, v20, 1.0
	v_fmac_f32_e32 v20, v21, v20
	s_delay_alu instid0(VALU_DEP_1) | instskip(NEXT) | instid1(VALU_DEP_1)
	v_mul_f32_e32 v21, v22, v20
	v_dual_cndmask_b32 v16, 0, v16, s16 :: v_dual_fma_f32 v23, -v19, v21, v22
	s_delay_alu instid0(VALU_DEP_1) | instskip(NEXT) | instid1(VALU_DEP_1)
	v_dual_fmac_f32 v21, v23, v20 :: v_dual_cndmask_b32 v7, 0, v7, s7
	v_fma_f32 v19, -v19, v21, v22
	s_delay_alu instid0(VALU_DEP_1) | instskip(NEXT) | instid1(VALU_DEP_1)
	v_div_fmas_f32 v19, v19, v20, v21
	v_div_fixup_f32 v18, v19, v18, 1.0
	s_delay_alu instid0(VALU_DEP_1)
	v_dual_mul_f32 v19, v0, v18 :: v_dual_mul_f32 v20, v1, v18
	v_dual_mul_f32 v21, v2, v18 :: v_dual_mul_f32 v22, v3, v18
	;; [unrolled: 1-line block ×9, first 2 shown]
	v_dual_cndmask_b32 v0, v0, v19, s18 :: v_dual_cndmask_b32 v1, v1, v20, s1
	v_dual_cndmask_b32 v2, v2, v21, s2 :: v_dual_cndmask_b32 v3, v3, v22, s3
	;; [unrolled: 1-line block ×9, first 2 shown]
.LBB21_42:
	v_mul_lo_u32 v18, v74, s21
	s_mov_b32 s0, exec_lo
	s_delay_alu instid0(VALU_DEP_1) | instskip(NEXT) | instid1(VALU_DEP_1)
	v_ashrrev_i32_e32 v19, 31, v18
	v_lshl_add_u64 v[18:19], v[18:19], 2, s[26:27]
	v_cmpx_gt_i32_e64 s21, v75
	s_cbranch_execnz .LBB21_62
; %bb.43:
	s_or_b32 exec_lo, exec_lo, s0
	s_delay_alu instid0(SALU_CYCLE_1)
	s_mov_b32 s0, exec_lo
	v_cmpx_gt_i32_e64 s21, v92
	s_cbranch_execnz .LBB21_63
.LBB21_44:
	s_or_b32 exec_lo, exec_lo, s0
	s_delay_alu instid0(SALU_CYCLE_1)
	s_mov_b32 s0, exec_lo
	v_cmpx_gt_i32_e64 s21, v91
	s_cbranch_execnz .LBB21_64
.LBB21_45:
	s_or_b32 exec_lo, exec_lo, s0
	s_delay_alu instid0(SALU_CYCLE_1)
	s_mov_b32 s0, exec_lo
	v_cmpx_gt_i32_e64 s21, v90
	s_cbranch_execnz .LBB21_65
.LBB21_46:
	s_or_b32 exec_lo, exec_lo, s0
	s_delay_alu instid0(SALU_CYCLE_1)
	s_mov_b32 s0, exec_lo
	v_cmpx_gt_i32_e64 s21, v89
	s_cbranch_execnz .LBB21_66
.LBB21_47:
	s_or_b32 exec_lo, exec_lo, s0
	s_delay_alu instid0(SALU_CYCLE_1)
	s_mov_b32 s0, exec_lo
	v_cmpx_gt_i32_e64 s21, v88
	s_cbranch_execnz .LBB21_67
.LBB21_48:
	s_or_b32 exec_lo, exec_lo, s0
	s_delay_alu instid0(SALU_CYCLE_1)
	s_mov_b32 s0, exec_lo
	v_cmpx_gt_i32_e64 s21, v87
	s_cbranch_execnz .LBB21_68
.LBB21_49:
	s_or_b32 exec_lo, exec_lo, s0
	s_delay_alu instid0(SALU_CYCLE_1)
	s_mov_b32 s0, exec_lo
	v_cmpx_gt_i32_e64 s21, v86
	s_cbranch_execnz .LBB21_69
.LBB21_50:
	s_or_b32 exec_lo, exec_lo, s0
	s_delay_alu instid0(SALU_CYCLE_1)
	s_mov_b32 s0, exec_lo
	v_cmpx_gt_i32_e64 s21, v85
	s_cbranch_execnz .LBB21_70
.LBB21_51:
	s_or_b32 exec_lo, exec_lo, s0
	s_delay_alu instid0(SALU_CYCLE_1)
	s_mov_b32 s0, exec_lo
	v_cmpx_gt_i32_e64 s21, v84
	s_cbranch_execnz .LBB21_71
.LBB21_52:
	s_or_b32 exec_lo, exec_lo, s0
	s_delay_alu instid0(SALU_CYCLE_1)
	s_mov_b32 s0, exec_lo
	v_cmpx_gt_i32_e64 s21, v83
	s_cbranch_execnz .LBB21_72
.LBB21_53:
	s_or_b32 exec_lo, exec_lo, s0
	s_delay_alu instid0(SALU_CYCLE_1)
	s_mov_b32 s0, exec_lo
	v_cmpx_gt_i32_e64 s21, v82
	s_cbranch_execnz .LBB21_73
.LBB21_54:
	s_or_b32 exec_lo, exec_lo, s0
	s_delay_alu instid0(SALU_CYCLE_1)
	s_mov_b32 s0, exec_lo
	v_cmpx_gt_i32_e64 s21, v81
	s_cbranch_execnz .LBB21_74
.LBB21_55:
	s_or_b32 exec_lo, exec_lo, s0
	s_delay_alu instid0(SALU_CYCLE_1)
	s_mov_b32 s0, exec_lo
	v_cmpx_gt_i32_e64 s21, v80
	s_cbranch_execnz .LBB21_75
.LBB21_56:
	s_or_b32 exec_lo, exec_lo, s0
	s_delay_alu instid0(SALU_CYCLE_1)
	s_mov_b32 s0, exec_lo
	v_cmpx_gt_i32_e64 s21, v79
	s_cbranch_execnz .LBB21_76
.LBB21_57:
	s_or_b32 exec_lo, exec_lo, s0
	s_delay_alu instid0(SALU_CYCLE_1)
	s_mov_b32 s0, exec_lo
	v_cmpx_gt_i32_e64 s21, v78
	s_cbranch_execnz .LBB21_77
.LBB21_58:
	s_or_b32 exec_lo, exec_lo, s0
	s_delay_alu instid0(SALU_CYCLE_1)
	s_mov_b32 s0, exec_lo
	v_cmpx_gt_i32_e64 s21, v77
	s_cbranch_execnz .LBB21_78
.LBB21_59:
	s_or_b32 exec_lo, exec_lo, s0
	v_cmp_gt_i32_e32 vcc_lo, s21, v76
	s_and_b32 exec_lo, exec_lo, vcc_lo
	s_cbranch_execz .LBB21_61
.LBB21_60:
	v_dual_mov_b32 v71, 0 :: v_dual_mul_f32 v2, s23, v17
	s_delay_alu instid0(VALU_DEP_1)
	v_add_nc_u64_e32 v[0:1], v[18:19], v[70:71]
	global_store_b32 v[0:1], v2, off offset:2176
.LBB21_61:
	s_sendmsg sendmsg(MSG_DEALLOC_VGPRS)
	s_endpgm
.LBB21_62:
	v_dual_mov_b32 v71, 0 :: v_dual_mul_f32 v0, s23, v0
	s_delay_alu instid0(VALU_DEP_1) | instskip(SKIP_3) | instid1(SALU_CYCLE_1)
	v_add_nc_u64_e32 v[20:21], v[18:19], v[70:71]
	global_store_b32 v[20:21], v0, off
	s_wait_xcnt 0x0
	s_or_b32 exec_lo, exec_lo, s0
	s_mov_b32 s0, exec_lo
	v_cmpx_gt_i32_e64 s21, v92
	s_cbranch_execz .LBB21_44
.LBB21_63:
	v_dual_mov_b32 v71, 0 :: v_dual_mul_f32 v0, s23, v1
	s_delay_alu instid0(VALU_DEP_1) | instskip(SKIP_3) | instid1(SALU_CYCLE_1)
	v_add_nc_u64_e32 v[20:21], v[18:19], v[70:71]
	global_store_b32 v[20:21], v0, off offset:128
	s_wait_xcnt 0x0
	s_or_b32 exec_lo, exec_lo, s0
	s_mov_b32 s0, exec_lo
	v_cmpx_gt_i32_e64 s21, v91
	s_cbranch_execz .LBB21_45
.LBB21_64:
	v_dual_mov_b32 v71, 0 :: v_dual_mul_f32 v2, s23, v2
	s_delay_alu instid0(VALU_DEP_1) | instskip(SKIP_3) | instid1(SALU_CYCLE_1)
	v_add_nc_u64_e32 v[0:1], v[18:19], v[70:71]
	global_store_b32 v[0:1], v2, off offset:256
	s_wait_xcnt 0x0
	s_or_b32 exec_lo, exec_lo, s0
	s_mov_b32 s0, exec_lo
	v_cmpx_gt_i32_e64 s21, v90
	s_cbranch_execz .LBB21_46
.LBB21_65:
	v_dual_mov_b32 v71, 0 :: v_dual_mul_f32 v2, s23, v3
	s_delay_alu instid0(VALU_DEP_1) | instskip(SKIP_3) | instid1(SALU_CYCLE_1)
	v_add_nc_u64_e32 v[0:1], v[18:19], v[70:71]
	global_store_b32 v[0:1], v2, off offset:384
	s_wait_xcnt 0x0
	s_or_b32 exec_lo, exec_lo, s0
	s_mov_b32 s0, exec_lo
	v_cmpx_gt_i32_e64 s21, v89
	s_cbranch_execz .LBB21_47
.LBB21_66:
	v_dual_mov_b32 v71, 0 :: v_dual_mul_f32 v2, s23, v4
	s_delay_alu instid0(VALU_DEP_1) | instskip(SKIP_3) | instid1(SALU_CYCLE_1)
	v_add_nc_u64_e32 v[0:1], v[18:19], v[70:71]
	global_store_b32 v[0:1], v2, off offset:512
	s_wait_xcnt 0x0
	s_or_b32 exec_lo, exec_lo, s0
	s_mov_b32 s0, exec_lo
	v_cmpx_gt_i32_e64 s21, v88
	s_cbranch_execz .LBB21_48
.LBB21_67:
	v_dual_mov_b32 v71, 0 :: v_dual_mul_f32 v2, s23, v5
	s_delay_alu instid0(VALU_DEP_1) | instskip(SKIP_3) | instid1(SALU_CYCLE_1)
	v_add_nc_u64_e32 v[0:1], v[18:19], v[70:71]
	global_store_b32 v[0:1], v2, off offset:640
	s_wait_xcnt 0x0
	s_or_b32 exec_lo, exec_lo, s0
	s_mov_b32 s0, exec_lo
	v_cmpx_gt_i32_e64 s21, v87
	s_cbranch_execz .LBB21_49
.LBB21_68:
	v_dual_mov_b32 v71, 0 :: v_dual_mul_f32 v2, s23, v6
	s_delay_alu instid0(VALU_DEP_1) | instskip(SKIP_3) | instid1(SALU_CYCLE_1)
	v_add_nc_u64_e32 v[0:1], v[18:19], v[70:71]
	global_store_b32 v[0:1], v2, off offset:768
	s_wait_xcnt 0x0
	s_or_b32 exec_lo, exec_lo, s0
	s_mov_b32 s0, exec_lo
	v_cmpx_gt_i32_e64 s21, v86
	s_cbranch_execz .LBB21_50
.LBB21_69:
	v_dual_mov_b32 v71, 0 :: v_dual_mul_f32 v2, s23, v7
	s_delay_alu instid0(VALU_DEP_1) | instskip(SKIP_3) | instid1(SALU_CYCLE_1)
	v_add_nc_u64_e32 v[0:1], v[18:19], v[70:71]
	global_store_b32 v[0:1], v2, off offset:896
	s_wait_xcnt 0x0
	s_or_b32 exec_lo, exec_lo, s0
	s_mov_b32 s0, exec_lo
	v_cmpx_gt_i32_e64 s21, v85
	s_cbranch_execz .LBB21_51
.LBB21_70:
	v_dual_mov_b32 v71, 0 :: v_dual_mul_f32 v2, s23, v8
	s_delay_alu instid0(VALU_DEP_1) | instskip(SKIP_3) | instid1(SALU_CYCLE_1)
	v_add_nc_u64_e32 v[0:1], v[18:19], v[70:71]
	global_store_b32 v[0:1], v2, off offset:1024
	s_wait_xcnt 0x0
	s_or_b32 exec_lo, exec_lo, s0
	s_mov_b32 s0, exec_lo
	v_cmpx_gt_i32_e64 s21, v84
	s_cbranch_execz .LBB21_52
.LBB21_71:
	v_dual_mov_b32 v71, 0 :: v_dual_mul_f32 v2, s23, v9
	s_delay_alu instid0(VALU_DEP_1) | instskip(SKIP_3) | instid1(SALU_CYCLE_1)
	v_add_nc_u64_e32 v[0:1], v[18:19], v[70:71]
	global_store_b32 v[0:1], v2, off offset:1152
	s_wait_xcnt 0x0
	s_or_b32 exec_lo, exec_lo, s0
	s_mov_b32 s0, exec_lo
	v_cmpx_gt_i32_e64 s21, v83
	s_cbranch_execz .LBB21_53
.LBB21_72:
	v_dual_mov_b32 v71, 0 :: v_dual_mul_f32 v2, s23, v10
	s_delay_alu instid0(VALU_DEP_1) | instskip(SKIP_3) | instid1(SALU_CYCLE_1)
	v_add_nc_u64_e32 v[0:1], v[18:19], v[70:71]
	global_store_b32 v[0:1], v2, off offset:1280
	s_wait_xcnt 0x0
	s_or_b32 exec_lo, exec_lo, s0
	s_mov_b32 s0, exec_lo
	v_cmpx_gt_i32_e64 s21, v82
	s_cbranch_execz .LBB21_54
.LBB21_73:
	v_dual_mov_b32 v71, 0 :: v_dual_mul_f32 v2, s23, v11
	s_delay_alu instid0(VALU_DEP_1) | instskip(SKIP_3) | instid1(SALU_CYCLE_1)
	v_add_nc_u64_e32 v[0:1], v[18:19], v[70:71]
	global_store_b32 v[0:1], v2, off offset:1408
	s_wait_xcnt 0x0
	s_or_b32 exec_lo, exec_lo, s0
	s_mov_b32 s0, exec_lo
	v_cmpx_gt_i32_e64 s21, v81
	s_cbranch_execz .LBB21_55
.LBB21_74:
	v_dual_mov_b32 v71, 0 :: v_dual_mul_f32 v2, s23, v12
	s_delay_alu instid0(VALU_DEP_1) | instskip(SKIP_3) | instid1(SALU_CYCLE_1)
	v_add_nc_u64_e32 v[0:1], v[18:19], v[70:71]
	global_store_b32 v[0:1], v2, off offset:1536
	s_wait_xcnt 0x0
	s_or_b32 exec_lo, exec_lo, s0
	s_mov_b32 s0, exec_lo
	v_cmpx_gt_i32_e64 s21, v80
	s_cbranch_execz .LBB21_56
.LBB21_75:
	v_dual_mov_b32 v71, 0 :: v_dual_mul_f32 v2, s23, v13
	s_delay_alu instid0(VALU_DEP_1) | instskip(SKIP_3) | instid1(SALU_CYCLE_1)
	v_add_nc_u64_e32 v[0:1], v[18:19], v[70:71]
	global_store_b32 v[0:1], v2, off offset:1664
	s_wait_xcnt 0x0
	s_or_b32 exec_lo, exec_lo, s0
	s_mov_b32 s0, exec_lo
	v_cmpx_gt_i32_e64 s21, v79
	s_cbranch_execz .LBB21_57
.LBB21_76:
	v_dual_mov_b32 v71, 0 :: v_dual_mul_f32 v2, s23, v14
	s_delay_alu instid0(VALU_DEP_1) | instskip(SKIP_3) | instid1(SALU_CYCLE_1)
	v_add_nc_u64_e32 v[0:1], v[18:19], v[70:71]
	global_store_b32 v[0:1], v2, off offset:1792
	s_wait_xcnt 0x0
	s_or_b32 exec_lo, exec_lo, s0
	s_mov_b32 s0, exec_lo
	v_cmpx_gt_i32_e64 s21, v78
	s_cbranch_execz .LBB21_58
.LBB21_77:
	v_dual_mov_b32 v71, 0 :: v_dual_mul_f32 v2, s23, v15
	s_delay_alu instid0(VALU_DEP_1) | instskip(SKIP_3) | instid1(SALU_CYCLE_1)
	v_add_nc_u64_e32 v[0:1], v[18:19], v[70:71]
	global_store_b32 v[0:1], v2, off offset:1920
	s_wait_xcnt 0x0
	s_or_b32 exec_lo, exec_lo, s0
	s_mov_b32 s0, exec_lo
	v_cmpx_gt_i32_e64 s21, v77
	s_cbranch_execz .LBB21_59
.LBB21_78:
	v_dual_mov_b32 v71, 0 :: v_dual_mul_f32 v2, s23, v16
	s_delay_alu instid0(VALU_DEP_1)
	v_add_nc_u64_e32 v[0:1], v[18:19], v[70:71]
	global_store_b32 v[0:1], v2, off offset:2048
	s_wait_xcnt 0x0
	s_or_b32 exec_lo, exec_lo, s0
	v_cmp_gt_i32_e32 vcc_lo, s21, v76
	s_and_b32 exec_lo, exec_lo, vcc_lo
	s_cbranch_execnz .LBB21_60
	s_branch .LBB21_61
	.section	.rodata,"a",@progbits
	.p2align	6, 0x0
	.amdhsa_kernel _Z13topk_moe_cudaILi576ELb0EEvPKfPfPiS2_iiff15topk_moe_config
		.amdhsa_group_segment_fixed_size 0
		.amdhsa_private_segment_fixed_size 0
		.amdhsa_kernarg_size 312
		.amdhsa_user_sgpr_count 2
		.amdhsa_user_sgpr_dispatch_ptr 0
		.amdhsa_user_sgpr_queue_ptr 0
		.amdhsa_user_sgpr_kernarg_segment_ptr 1
		.amdhsa_user_sgpr_dispatch_id 0
		.amdhsa_user_sgpr_kernarg_preload_length 0
		.amdhsa_user_sgpr_kernarg_preload_offset 0
		.amdhsa_user_sgpr_private_segment_size 0
		.amdhsa_wavefront_size32 1
		.amdhsa_uses_dynamic_stack 0
		.amdhsa_enable_private_segment 0
		.amdhsa_system_sgpr_workgroup_id_x 1
		.amdhsa_system_sgpr_workgroup_id_y 0
		.amdhsa_system_sgpr_workgroup_id_z 0
		.amdhsa_system_sgpr_workgroup_info 0
		.amdhsa_system_vgpr_workitem_id 1
		.amdhsa_next_free_vgpr 100
		.amdhsa_next_free_sgpr 28
		.amdhsa_named_barrier_count 0
		.amdhsa_reserve_vcc 1
		.amdhsa_float_round_mode_32 0
		.amdhsa_float_round_mode_16_64 0
		.amdhsa_float_denorm_mode_32 3
		.amdhsa_float_denorm_mode_16_64 3
		.amdhsa_fp16_overflow 0
		.amdhsa_memory_ordered 1
		.amdhsa_forward_progress 1
		.amdhsa_inst_pref_size 108
		.amdhsa_round_robin_scheduling 0
		.amdhsa_exception_fp_ieee_invalid_op 0
		.amdhsa_exception_fp_denorm_src 0
		.amdhsa_exception_fp_ieee_div_zero 0
		.amdhsa_exception_fp_ieee_overflow 0
		.amdhsa_exception_fp_ieee_underflow 0
		.amdhsa_exception_fp_ieee_inexact 0
		.amdhsa_exception_int_div_zero 0
	.end_amdhsa_kernel
	.section	.text._Z13topk_moe_cudaILi576ELb0EEvPKfPfPiS2_iiff15topk_moe_config,"axG",@progbits,_Z13topk_moe_cudaILi576ELb0EEvPKfPfPiS2_iiff15topk_moe_config,comdat
.Lfunc_end21:
	.size	_Z13topk_moe_cudaILi576ELb0EEvPKfPfPiS2_iiff15topk_moe_config, .Lfunc_end21-_Z13topk_moe_cudaILi576ELb0EEvPKfPfPiS2_iiff15topk_moe_config
                                        ; -- End function
	.set _Z13topk_moe_cudaILi576ELb0EEvPKfPfPiS2_iiff15topk_moe_config.num_vgpr, 100
	.set _Z13topk_moe_cudaILi576ELb0EEvPKfPfPiS2_iiff15topk_moe_config.num_agpr, 0
	.set _Z13topk_moe_cudaILi576ELb0EEvPKfPfPiS2_iiff15topk_moe_config.numbered_sgpr, 28
	.set _Z13topk_moe_cudaILi576ELb0EEvPKfPfPiS2_iiff15topk_moe_config.num_named_barrier, 0
	.set _Z13topk_moe_cudaILi576ELb0EEvPKfPfPiS2_iiff15topk_moe_config.private_seg_size, 0
	.set _Z13topk_moe_cudaILi576ELb0EEvPKfPfPiS2_iiff15topk_moe_config.uses_vcc, 1
	.set _Z13topk_moe_cudaILi576ELb0EEvPKfPfPiS2_iiff15topk_moe_config.uses_flat_scratch, 0
	.set _Z13topk_moe_cudaILi576ELb0EEvPKfPfPiS2_iiff15topk_moe_config.has_dyn_sized_stack, 0
	.set _Z13topk_moe_cudaILi576ELb0EEvPKfPfPiS2_iiff15topk_moe_config.has_recursion, 0
	.set _Z13topk_moe_cudaILi576ELb0EEvPKfPfPiS2_iiff15topk_moe_config.has_indirect_call, 0
	.section	.AMDGPU.csdata,"",@progbits
; Kernel info:
; codeLenInByte = 13760
; TotalNumSgprs: 30
; NumVgprs: 100
; ScratchSize: 0
; MemoryBound: 0
; FloatMode: 240
; IeeeMode: 1
; LDSByteSize: 0 bytes/workgroup (compile time only)
; SGPRBlocks: 0
; VGPRBlocks: 6
; NumSGPRsForWavesPerEU: 30
; NumVGPRsForWavesPerEU: 100
; NamedBarCnt: 0
; Occupancy: 9
; WaveLimiterHint : 1
; COMPUTE_PGM_RSRC2:SCRATCH_EN: 0
; COMPUTE_PGM_RSRC2:USER_SGPR: 2
; COMPUTE_PGM_RSRC2:TRAP_HANDLER: 0
; COMPUTE_PGM_RSRC2:TGID_X_EN: 1
; COMPUTE_PGM_RSRC2:TGID_Y_EN: 0
; COMPUTE_PGM_RSRC2:TGID_Z_EN: 0
; COMPUTE_PGM_RSRC2:TIDIG_COMP_CNT: 1
	.section	.AMDGPU.gpr_maximums,"",@progbits
	.set amdgpu.max_num_vgpr, 0
	.set amdgpu.max_num_agpr, 0
	.set amdgpu.max_num_sgpr, 0
	.section	.AMDGPU.csdata,"",@progbits
	.type	__hip_cuid_4b183cebdd7cddd4,@object ; @__hip_cuid_4b183cebdd7cddd4
	.section	.bss,"aw",@nobits
	.globl	__hip_cuid_4b183cebdd7cddd4
__hip_cuid_4b183cebdd7cddd4:
	.byte	0                               ; 0x0
	.size	__hip_cuid_4b183cebdd7cddd4, 1

	.ident	"AMD clang version 22.0.0git (https://github.com/RadeonOpenCompute/llvm-project roc-7.2.4 26084 f58b06dce1f9c15707c5f808fd002e18c2accf7e)"
	.section	".note.GNU-stack","",@progbits
	.addrsig
	.addrsig_sym __hip_cuid_4b183cebdd7cddd4
	.amdgpu_metadata
---
amdhsa.kernels:
  - .args:
      - .address_space:  global
        .offset:         0
        .size:           8
        .value_kind:     global_buffer
      - .address_space:  global
        .offset:         8
        .size:           8
        .value_kind:     global_buffer
      - .address_space:  global
        .offset:         16
        .size:           8
        .value_kind:     global_buffer
      - .address_space:  global
        .offset:         24
        .size:           8
        .value_kind:     global_buffer
      - .offset:         32
        .size:           4
        .value_kind:     by_value
      - .offset:         36
        .size:           4
        .value_kind:     by_value
      - .offset:         40
        .size:           4
        .value_kind:     by_value
      - .offset:         44
        .size:           4
        .value_kind:     by_value
      - .offset:         48
        .size:           3
        .value_kind:     by_value
      - .offset:         56
        .size:           4
        .value_kind:     hidden_block_count_x
      - .offset:         60
        .size:           4
        .value_kind:     hidden_block_count_y
      - .offset:         64
        .size:           4
        .value_kind:     hidden_block_count_z
      - .offset:         68
        .size:           2
        .value_kind:     hidden_group_size_x
      - .offset:         70
        .size:           2
        .value_kind:     hidden_group_size_y
      - .offset:         72
        .size:           2
        .value_kind:     hidden_group_size_z
      - .offset:         74
        .size:           2
        .value_kind:     hidden_remainder_x
      - .offset:         76
        .size:           2
        .value_kind:     hidden_remainder_y
      - .offset:         78
        .size:           2
        .value_kind:     hidden_remainder_z
      - .offset:         96
        .size:           8
        .value_kind:     hidden_global_offset_x
      - .offset:         104
        .size:           8
        .value_kind:     hidden_global_offset_y
      - .offset:         112
        .size:           8
        .value_kind:     hidden_global_offset_z
      - .offset:         120
        .size:           2
        .value_kind:     hidden_grid_dims
    .group_segment_fixed_size: 0
    .kernarg_segment_align: 8
    .kernarg_segment_size: 312
    .language:       OpenCL C
    .language_version:
      - 2
      - 0
    .max_flat_workgroup_size: 128
    .name:           _Z13topk_moe_cudaILi1ELb1EEvPKfPfPiS2_iiff15topk_moe_config
    .private_segment_fixed_size: 0
    .sgpr_count:     18
    .sgpr_spill_count: 0
    .symbol:         _Z13topk_moe_cudaILi1ELb1EEvPKfPfPiS2_iiff15topk_moe_config.kd
    .uniform_work_group_size: 1
    .uses_dynamic_stack: false
    .vgpr_count:     24
    .vgpr_spill_count: 0
    .wavefront_size: 32
  - .args:
      - .address_space:  global
        .offset:         0
        .size:           8
        .value_kind:     global_buffer
      - .address_space:  global
        .offset:         8
        .size:           8
        .value_kind:     global_buffer
      - .address_space:  global
        .offset:         16
        .size:           8
        .value_kind:     global_buffer
      - .address_space:  global
        .offset:         24
        .size:           8
        .value_kind:     global_buffer
      - .offset:         32
        .size:           4
        .value_kind:     by_value
      - .offset:         36
        .size:           4
        .value_kind:     by_value
      - .offset:         40
        .size:           4
        .value_kind:     by_value
      - .offset:         44
        .size:           4
        .value_kind:     by_value
      - .offset:         48
        .size:           3
        .value_kind:     by_value
      - .offset:         56
        .size:           4
        .value_kind:     hidden_block_count_x
      - .offset:         60
        .size:           4
        .value_kind:     hidden_block_count_y
      - .offset:         64
        .size:           4
        .value_kind:     hidden_block_count_z
      - .offset:         68
        .size:           2
        .value_kind:     hidden_group_size_x
      - .offset:         70
        .size:           2
        .value_kind:     hidden_group_size_y
      - .offset:         72
        .size:           2
        .value_kind:     hidden_group_size_z
      - .offset:         74
        .size:           2
        .value_kind:     hidden_remainder_x
      - .offset:         76
        .size:           2
        .value_kind:     hidden_remainder_y
      - .offset:         78
        .size:           2
        .value_kind:     hidden_remainder_z
      - .offset:         96
        .size:           8
        .value_kind:     hidden_global_offset_x
      - .offset:         104
        .size:           8
        .value_kind:     hidden_global_offset_y
      - .offset:         112
        .size:           8
        .value_kind:     hidden_global_offset_z
      - .offset:         120
        .size:           2
        .value_kind:     hidden_grid_dims
    .group_segment_fixed_size: 0
    .kernarg_segment_align: 8
    .kernarg_segment_size: 312
    .language:       OpenCL C
    .language_version:
      - 2
      - 0
    .max_flat_workgroup_size: 128
    .name:           _Z13topk_moe_cudaILi2ELb1EEvPKfPfPiS2_iiff15topk_moe_config
    .private_segment_fixed_size: 0
    .sgpr_count:     18
    .sgpr_spill_count: 0
    .symbol:         _Z13topk_moe_cudaILi2ELb1EEvPKfPfPiS2_iiff15topk_moe_config.kd
    .uniform_work_group_size: 1
    .uses_dynamic_stack: false
    .vgpr_count:     25
    .vgpr_spill_count: 0
    .wavefront_size: 32
  - .args:
      - .address_space:  global
        .offset:         0
        .size:           8
        .value_kind:     global_buffer
      - .address_space:  global
        .offset:         8
        .size:           8
        .value_kind:     global_buffer
      - .address_space:  global
        .offset:         16
        .size:           8
        .value_kind:     global_buffer
      - .address_space:  global
        .offset:         24
        .size:           8
        .value_kind:     global_buffer
      - .offset:         32
        .size:           4
        .value_kind:     by_value
      - .offset:         36
        .size:           4
        .value_kind:     by_value
      - .offset:         40
        .size:           4
        .value_kind:     by_value
      - .offset:         44
        .size:           4
        .value_kind:     by_value
      - .offset:         48
        .size:           3
        .value_kind:     by_value
      - .offset:         56
        .size:           4
        .value_kind:     hidden_block_count_x
      - .offset:         60
        .size:           4
        .value_kind:     hidden_block_count_y
      - .offset:         64
        .size:           4
        .value_kind:     hidden_block_count_z
      - .offset:         68
        .size:           2
        .value_kind:     hidden_group_size_x
      - .offset:         70
        .size:           2
        .value_kind:     hidden_group_size_y
      - .offset:         72
        .size:           2
        .value_kind:     hidden_group_size_z
      - .offset:         74
        .size:           2
        .value_kind:     hidden_remainder_x
      - .offset:         76
        .size:           2
        .value_kind:     hidden_remainder_y
      - .offset:         78
        .size:           2
        .value_kind:     hidden_remainder_z
      - .offset:         96
        .size:           8
        .value_kind:     hidden_global_offset_x
      - .offset:         104
        .size:           8
        .value_kind:     hidden_global_offset_y
      - .offset:         112
        .size:           8
        .value_kind:     hidden_global_offset_z
      - .offset:         120
        .size:           2
        .value_kind:     hidden_grid_dims
    .group_segment_fixed_size: 0
    .kernarg_segment_align: 8
    .kernarg_segment_size: 312
    .language:       OpenCL C
    .language_version:
      - 2
      - 0
    .max_flat_workgroup_size: 128
    .name:           _Z13topk_moe_cudaILi4ELb1EEvPKfPfPiS2_iiff15topk_moe_config
    .private_segment_fixed_size: 0
    .sgpr_count:     18
    .sgpr_spill_count: 0
    .symbol:         _Z13topk_moe_cudaILi4ELb1EEvPKfPfPiS2_iiff15topk_moe_config.kd
    .uniform_work_group_size: 1
    .uses_dynamic_stack: false
    .vgpr_count:     25
    .vgpr_spill_count: 0
    .wavefront_size: 32
  - .args:
      - .address_space:  global
        .offset:         0
        .size:           8
        .value_kind:     global_buffer
      - .address_space:  global
        .offset:         8
        .size:           8
        .value_kind:     global_buffer
      - .address_space:  global
        .offset:         16
        .size:           8
        .value_kind:     global_buffer
      - .address_space:  global
        .offset:         24
        .size:           8
        .value_kind:     global_buffer
      - .offset:         32
        .size:           4
        .value_kind:     by_value
      - .offset:         36
        .size:           4
        .value_kind:     by_value
      - .offset:         40
        .size:           4
        .value_kind:     by_value
      - .offset:         44
        .size:           4
        .value_kind:     by_value
      - .offset:         48
        .size:           3
        .value_kind:     by_value
      - .offset:         56
        .size:           4
        .value_kind:     hidden_block_count_x
      - .offset:         60
        .size:           4
        .value_kind:     hidden_block_count_y
      - .offset:         64
        .size:           4
        .value_kind:     hidden_block_count_z
      - .offset:         68
        .size:           2
        .value_kind:     hidden_group_size_x
      - .offset:         70
        .size:           2
        .value_kind:     hidden_group_size_y
      - .offset:         72
        .size:           2
        .value_kind:     hidden_group_size_z
      - .offset:         74
        .size:           2
        .value_kind:     hidden_remainder_x
      - .offset:         76
        .size:           2
        .value_kind:     hidden_remainder_y
      - .offset:         78
        .size:           2
        .value_kind:     hidden_remainder_z
      - .offset:         96
        .size:           8
        .value_kind:     hidden_global_offset_x
      - .offset:         104
        .size:           8
        .value_kind:     hidden_global_offset_y
      - .offset:         112
        .size:           8
        .value_kind:     hidden_global_offset_z
      - .offset:         120
        .size:           2
        .value_kind:     hidden_grid_dims
    .group_segment_fixed_size: 0
    .kernarg_segment_align: 8
    .kernarg_segment_size: 312
    .language:       OpenCL C
    .language_version:
      - 2
      - 0
    .max_flat_workgroup_size: 128
    .name:           _Z13topk_moe_cudaILi8ELb1EEvPKfPfPiS2_iiff15topk_moe_config
    .private_segment_fixed_size: 0
    .sgpr_count:     18
    .sgpr_spill_count: 0
    .symbol:         _Z13topk_moe_cudaILi8ELb1EEvPKfPfPiS2_iiff15topk_moe_config.kd
    .uniform_work_group_size: 1
    .uses_dynamic_stack: false
    .vgpr_count:     25
    .vgpr_spill_count: 0
    .wavefront_size: 32
  - .args:
      - .address_space:  global
        .offset:         0
        .size:           8
        .value_kind:     global_buffer
      - .address_space:  global
        .offset:         8
        .size:           8
        .value_kind:     global_buffer
      - .address_space:  global
        .offset:         16
        .size:           8
        .value_kind:     global_buffer
      - .address_space:  global
        .offset:         24
        .size:           8
        .value_kind:     global_buffer
      - .offset:         32
        .size:           4
        .value_kind:     by_value
      - .offset:         36
        .size:           4
        .value_kind:     by_value
      - .offset:         40
        .size:           4
        .value_kind:     by_value
      - .offset:         44
        .size:           4
        .value_kind:     by_value
      - .offset:         48
        .size:           3
        .value_kind:     by_value
      - .offset:         56
        .size:           4
        .value_kind:     hidden_block_count_x
      - .offset:         60
        .size:           4
        .value_kind:     hidden_block_count_y
      - .offset:         64
        .size:           4
        .value_kind:     hidden_block_count_z
      - .offset:         68
        .size:           2
        .value_kind:     hidden_group_size_x
      - .offset:         70
        .size:           2
        .value_kind:     hidden_group_size_y
      - .offset:         72
        .size:           2
        .value_kind:     hidden_group_size_z
      - .offset:         74
        .size:           2
        .value_kind:     hidden_remainder_x
      - .offset:         76
        .size:           2
        .value_kind:     hidden_remainder_y
      - .offset:         78
        .size:           2
        .value_kind:     hidden_remainder_z
      - .offset:         96
        .size:           8
        .value_kind:     hidden_global_offset_x
      - .offset:         104
        .size:           8
        .value_kind:     hidden_global_offset_y
      - .offset:         112
        .size:           8
        .value_kind:     hidden_global_offset_z
      - .offset:         120
        .size:           2
        .value_kind:     hidden_grid_dims
    .group_segment_fixed_size: 0
    .kernarg_segment_align: 8
    .kernarg_segment_size: 312
    .language:       OpenCL C
    .language_version:
      - 2
      - 0
    .max_flat_workgroup_size: 128
    .name:           _Z13topk_moe_cudaILi16ELb1EEvPKfPfPiS2_iiff15topk_moe_config
    .private_segment_fixed_size: 0
    .sgpr_count:     18
    .sgpr_spill_count: 0
    .symbol:         _Z13topk_moe_cudaILi16ELb1EEvPKfPfPiS2_iiff15topk_moe_config.kd
    .uniform_work_group_size: 1
    .uses_dynamic_stack: false
    .vgpr_count:     25
    .vgpr_spill_count: 0
    .wavefront_size: 32
  - .args:
      - .address_space:  global
        .offset:         0
        .size:           8
        .value_kind:     global_buffer
      - .address_space:  global
        .offset:         8
        .size:           8
        .value_kind:     global_buffer
      - .address_space:  global
        .offset:         16
        .size:           8
        .value_kind:     global_buffer
      - .address_space:  global
        .offset:         24
        .size:           8
        .value_kind:     global_buffer
      - .offset:         32
        .size:           4
        .value_kind:     by_value
      - .offset:         36
        .size:           4
        .value_kind:     by_value
      - .offset:         40
        .size:           4
        .value_kind:     by_value
      - .offset:         44
        .size:           4
        .value_kind:     by_value
      - .offset:         48
        .size:           3
        .value_kind:     by_value
      - .offset:         56
        .size:           4
        .value_kind:     hidden_block_count_x
      - .offset:         60
        .size:           4
        .value_kind:     hidden_block_count_y
      - .offset:         64
        .size:           4
        .value_kind:     hidden_block_count_z
      - .offset:         68
        .size:           2
        .value_kind:     hidden_group_size_x
      - .offset:         70
        .size:           2
        .value_kind:     hidden_group_size_y
      - .offset:         72
        .size:           2
        .value_kind:     hidden_group_size_z
      - .offset:         74
        .size:           2
        .value_kind:     hidden_remainder_x
      - .offset:         76
        .size:           2
        .value_kind:     hidden_remainder_y
      - .offset:         78
        .size:           2
        .value_kind:     hidden_remainder_z
      - .offset:         96
        .size:           8
        .value_kind:     hidden_global_offset_x
      - .offset:         104
        .size:           8
        .value_kind:     hidden_global_offset_y
      - .offset:         112
        .size:           8
        .value_kind:     hidden_global_offset_z
      - .offset:         120
        .size:           2
        .value_kind:     hidden_grid_dims
    .group_segment_fixed_size: 0
    .kernarg_segment_align: 8
    .kernarg_segment_size: 312
    .language:       OpenCL C
    .language_version:
      - 2
      - 0
    .max_flat_workgroup_size: 128
    .name:           _Z13topk_moe_cudaILi32ELb1EEvPKfPfPiS2_iiff15topk_moe_config
    .private_segment_fixed_size: 0
    .sgpr_count:     18
    .sgpr_spill_count: 0
    .symbol:         _Z13topk_moe_cudaILi32ELb1EEvPKfPfPiS2_iiff15topk_moe_config.kd
    .uniform_work_group_size: 1
    .uses_dynamic_stack: false
    .vgpr_count:     25
    .vgpr_spill_count: 0
    .wavefront_size: 32
  - .args:
      - .address_space:  global
        .offset:         0
        .size:           8
        .value_kind:     global_buffer
      - .address_space:  global
        .offset:         8
        .size:           8
        .value_kind:     global_buffer
      - .address_space:  global
        .offset:         16
        .size:           8
        .value_kind:     global_buffer
      - .address_space:  global
        .offset:         24
        .size:           8
        .value_kind:     global_buffer
      - .offset:         32
        .size:           4
        .value_kind:     by_value
      - .offset:         36
        .size:           4
        .value_kind:     by_value
      - .offset:         40
        .size:           4
        .value_kind:     by_value
      - .offset:         44
        .size:           4
        .value_kind:     by_value
      - .offset:         48
        .size:           3
        .value_kind:     by_value
      - .offset:         56
        .size:           4
        .value_kind:     hidden_block_count_x
      - .offset:         60
        .size:           4
        .value_kind:     hidden_block_count_y
      - .offset:         64
        .size:           4
        .value_kind:     hidden_block_count_z
      - .offset:         68
        .size:           2
        .value_kind:     hidden_group_size_x
      - .offset:         70
        .size:           2
        .value_kind:     hidden_group_size_y
      - .offset:         72
        .size:           2
        .value_kind:     hidden_group_size_z
      - .offset:         74
        .size:           2
        .value_kind:     hidden_remainder_x
      - .offset:         76
        .size:           2
        .value_kind:     hidden_remainder_y
      - .offset:         78
        .size:           2
        .value_kind:     hidden_remainder_z
      - .offset:         96
        .size:           8
        .value_kind:     hidden_global_offset_x
      - .offset:         104
        .size:           8
        .value_kind:     hidden_global_offset_y
      - .offset:         112
        .size:           8
        .value_kind:     hidden_global_offset_z
      - .offset:         120
        .size:           2
        .value_kind:     hidden_grid_dims
    .group_segment_fixed_size: 0
    .kernarg_segment_align: 8
    .kernarg_segment_size: 312
    .language:       OpenCL C
    .language_version:
      - 2
      - 0
    .max_flat_workgroup_size: 128
    .name:           _Z13topk_moe_cudaILi64ELb1EEvPKfPfPiS2_iiff15topk_moe_config
    .private_segment_fixed_size: 0
    .sgpr_count:     18
    .sgpr_spill_count: 0
    .symbol:         _Z13topk_moe_cudaILi64ELb1EEvPKfPfPiS2_iiff15topk_moe_config.kd
    .uniform_work_group_size: 1
    .uses_dynamic_stack: false
    .vgpr_count:     27
    .vgpr_spill_count: 0
    .wavefront_size: 32
  - .args:
      - .address_space:  global
        .offset:         0
        .size:           8
        .value_kind:     global_buffer
      - .address_space:  global
        .offset:         8
        .size:           8
        .value_kind:     global_buffer
      - .address_space:  global
        .offset:         16
        .size:           8
        .value_kind:     global_buffer
      - .address_space:  global
        .offset:         24
        .size:           8
        .value_kind:     global_buffer
      - .offset:         32
        .size:           4
        .value_kind:     by_value
      - .offset:         36
        .size:           4
        .value_kind:     by_value
      - .offset:         40
        .size:           4
        .value_kind:     by_value
      - .offset:         44
        .size:           4
        .value_kind:     by_value
      - .offset:         48
        .size:           3
        .value_kind:     by_value
      - .offset:         56
        .size:           4
        .value_kind:     hidden_block_count_x
      - .offset:         60
        .size:           4
        .value_kind:     hidden_block_count_y
      - .offset:         64
        .size:           4
        .value_kind:     hidden_block_count_z
      - .offset:         68
        .size:           2
        .value_kind:     hidden_group_size_x
      - .offset:         70
        .size:           2
        .value_kind:     hidden_group_size_y
      - .offset:         72
        .size:           2
        .value_kind:     hidden_group_size_z
      - .offset:         74
        .size:           2
        .value_kind:     hidden_remainder_x
      - .offset:         76
        .size:           2
        .value_kind:     hidden_remainder_y
      - .offset:         78
        .size:           2
        .value_kind:     hidden_remainder_z
      - .offset:         96
        .size:           8
        .value_kind:     hidden_global_offset_x
      - .offset:         104
        .size:           8
        .value_kind:     hidden_global_offset_y
      - .offset:         112
        .size:           8
        .value_kind:     hidden_global_offset_z
      - .offset:         120
        .size:           2
        .value_kind:     hidden_grid_dims
    .group_segment_fixed_size: 0
    .kernarg_segment_align: 8
    .kernarg_segment_size: 312
    .language:       OpenCL C
    .language_version:
      - 2
      - 0
    .max_flat_workgroup_size: 128
    .name:           _Z13topk_moe_cudaILi128ELb1EEvPKfPfPiS2_iiff15topk_moe_config
    .private_segment_fixed_size: 0
    .sgpr_count:     18
    .sgpr_spill_count: 0
    .symbol:         _Z13topk_moe_cudaILi128ELb1EEvPKfPfPiS2_iiff15topk_moe_config.kd
    .uniform_work_group_size: 1
    .uses_dynamic_stack: false
    .vgpr_count:     33
    .vgpr_spill_count: 0
    .wavefront_size: 32
  - .args:
      - .address_space:  global
        .offset:         0
        .size:           8
        .value_kind:     global_buffer
      - .address_space:  global
        .offset:         8
        .size:           8
        .value_kind:     global_buffer
      - .address_space:  global
        .offset:         16
        .size:           8
        .value_kind:     global_buffer
      - .address_space:  global
        .offset:         24
        .size:           8
        .value_kind:     global_buffer
      - .offset:         32
        .size:           4
        .value_kind:     by_value
      - .offset:         36
        .size:           4
        .value_kind:     by_value
      - .offset:         40
        .size:           4
        .value_kind:     by_value
      - .offset:         44
        .size:           4
        .value_kind:     by_value
      - .offset:         48
        .size:           3
        .value_kind:     by_value
      - .offset:         56
        .size:           4
        .value_kind:     hidden_block_count_x
      - .offset:         60
        .size:           4
        .value_kind:     hidden_block_count_y
      - .offset:         64
        .size:           4
        .value_kind:     hidden_block_count_z
      - .offset:         68
        .size:           2
        .value_kind:     hidden_group_size_x
      - .offset:         70
        .size:           2
        .value_kind:     hidden_group_size_y
      - .offset:         72
        .size:           2
        .value_kind:     hidden_group_size_z
      - .offset:         74
        .size:           2
        .value_kind:     hidden_remainder_x
      - .offset:         76
        .size:           2
        .value_kind:     hidden_remainder_y
      - .offset:         78
        .size:           2
        .value_kind:     hidden_remainder_z
      - .offset:         96
        .size:           8
        .value_kind:     hidden_global_offset_x
      - .offset:         104
        .size:           8
        .value_kind:     hidden_global_offset_y
      - .offset:         112
        .size:           8
        .value_kind:     hidden_global_offset_z
      - .offset:         120
        .size:           2
        .value_kind:     hidden_grid_dims
    .group_segment_fixed_size: 0
    .kernarg_segment_align: 8
    .kernarg_segment_size: 312
    .language:       OpenCL C
    .language_version:
      - 2
      - 0
    .max_flat_workgroup_size: 128
    .name:           _Z13topk_moe_cudaILi256ELb1EEvPKfPfPiS2_iiff15topk_moe_config
    .private_segment_fixed_size: 0
    .sgpr_count:     22
    .sgpr_spill_count: 0
    .symbol:         _Z13topk_moe_cudaILi256ELb1EEvPKfPfPiS2_iiff15topk_moe_config.kd
    .uniform_work_group_size: 1
    .uses_dynamic_stack: false
    .vgpr_count:     52
    .vgpr_spill_count: 0
    .wavefront_size: 32
  - .args:
      - .address_space:  global
        .offset:         0
        .size:           8
        .value_kind:     global_buffer
      - .address_space:  global
        .offset:         8
        .size:           8
        .value_kind:     global_buffer
      - .address_space:  global
        .offset:         16
        .size:           8
        .value_kind:     global_buffer
      - .address_space:  global
        .offset:         24
        .size:           8
        .value_kind:     global_buffer
      - .offset:         32
        .size:           4
        .value_kind:     by_value
      - .offset:         36
        .size:           4
        .value_kind:     by_value
      - .offset:         40
        .size:           4
        .value_kind:     by_value
      - .offset:         44
        .size:           4
        .value_kind:     by_value
      - .offset:         48
        .size:           3
        .value_kind:     by_value
      - .offset:         56
        .size:           4
        .value_kind:     hidden_block_count_x
      - .offset:         60
        .size:           4
        .value_kind:     hidden_block_count_y
      - .offset:         64
        .size:           4
        .value_kind:     hidden_block_count_z
      - .offset:         68
        .size:           2
        .value_kind:     hidden_group_size_x
      - .offset:         70
        .size:           2
        .value_kind:     hidden_group_size_y
      - .offset:         72
        .size:           2
        .value_kind:     hidden_group_size_z
      - .offset:         74
        .size:           2
        .value_kind:     hidden_remainder_x
      - .offset:         76
        .size:           2
        .value_kind:     hidden_remainder_y
      - .offset:         78
        .size:           2
        .value_kind:     hidden_remainder_z
      - .offset:         96
        .size:           8
        .value_kind:     hidden_global_offset_x
      - .offset:         104
        .size:           8
        .value_kind:     hidden_global_offset_y
      - .offset:         112
        .size:           8
        .value_kind:     hidden_global_offset_z
      - .offset:         120
        .size:           2
        .value_kind:     hidden_grid_dims
    .group_segment_fixed_size: 0
    .kernarg_segment_align: 8
    .kernarg_segment_size: 312
    .language:       OpenCL C
    .language_version:
      - 2
      - 0
    .max_flat_workgroup_size: 128
    .name:           _Z13topk_moe_cudaILi512ELb1EEvPKfPfPiS2_iiff15topk_moe_config
    .private_segment_fixed_size: 0
    .sgpr_count:     30
    .sgpr_spill_count: 0
    .symbol:         _Z13topk_moe_cudaILi512ELb1EEvPKfPfPiS2_iiff15topk_moe_config.kd
    .uniform_work_group_size: 1
    .uses_dynamic_stack: false
    .vgpr_count:     92
    .vgpr_spill_count: 0
    .wavefront_size: 32
  - .args:
      - .address_space:  global
        .offset:         0
        .size:           8
        .value_kind:     global_buffer
      - .address_space:  global
        .offset:         8
        .size:           8
        .value_kind:     global_buffer
      - .address_space:  global
        .offset:         16
        .size:           8
        .value_kind:     global_buffer
      - .address_space:  global
        .offset:         24
        .size:           8
        .value_kind:     global_buffer
      - .offset:         32
        .size:           4
        .value_kind:     by_value
      - .offset:         36
        .size:           4
        .value_kind:     by_value
      - .offset:         40
        .size:           4
        .value_kind:     by_value
      - .offset:         44
        .size:           4
        .value_kind:     by_value
      - .offset:         48
        .size:           3
        .value_kind:     by_value
      - .offset:         56
        .size:           4
        .value_kind:     hidden_block_count_x
      - .offset:         60
        .size:           4
        .value_kind:     hidden_block_count_y
      - .offset:         64
        .size:           4
        .value_kind:     hidden_block_count_z
      - .offset:         68
        .size:           2
        .value_kind:     hidden_group_size_x
      - .offset:         70
        .size:           2
        .value_kind:     hidden_group_size_y
      - .offset:         72
        .size:           2
        .value_kind:     hidden_group_size_z
      - .offset:         74
        .size:           2
        .value_kind:     hidden_remainder_x
      - .offset:         76
        .size:           2
        .value_kind:     hidden_remainder_y
      - .offset:         78
        .size:           2
        .value_kind:     hidden_remainder_z
      - .offset:         96
        .size:           8
        .value_kind:     hidden_global_offset_x
      - .offset:         104
        .size:           8
        .value_kind:     hidden_global_offset_y
      - .offset:         112
        .size:           8
        .value_kind:     hidden_global_offset_z
      - .offset:         120
        .size:           2
        .value_kind:     hidden_grid_dims
    .group_segment_fixed_size: 0
    .kernarg_segment_align: 8
    .kernarg_segment_size: 312
    .language:       OpenCL C
    .language_version:
      - 2
      - 0
    .max_flat_workgroup_size: 128
    .name:           _Z13topk_moe_cudaILi576ELb1EEvPKfPfPiS2_iiff15topk_moe_config
    .private_segment_fixed_size: 0
    .sgpr_count:     34
    .sgpr_spill_count: 0
    .symbol:         _Z13topk_moe_cudaILi576ELb1EEvPKfPfPiS2_iiff15topk_moe_config.kd
    .uniform_work_group_size: 1
    .uses_dynamic_stack: false
    .vgpr_count:     116
    .vgpr_spill_count: 0
    .wavefront_size: 32
  - .args:
      - .address_space:  global
        .offset:         0
        .size:           8
        .value_kind:     global_buffer
      - .address_space:  global
        .offset:         8
        .size:           8
        .value_kind:     global_buffer
      - .address_space:  global
        .offset:         16
        .size:           8
        .value_kind:     global_buffer
      - .address_space:  global
        .offset:         24
        .size:           8
        .value_kind:     global_buffer
      - .offset:         32
        .size:           4
        .value_kind:     by_value
      - .offset:         36
        .size:           4
        .value_kind:     by_value
      - .offset:         40
        .size:           4
        .value_kind:     by_value
      - .offset:         44
        .size:           4
        .value_kind:     by_value
      - .offset:         48
        .size:           3
        .value_kind:     by_value
      - .offset:         56
        .size:           4
        .value_kind:     hidden_block_count_x
      - .offset:         60
        .size:           4
        .value_kind:     hidden_block_count_y
      - .offset:         64
        .size:           4
        .value_kind:     hidden_block_count_z
      - .offset:         68
        .size:           2
        .value_kind:     hidden_group_size_x
      - .offset:         70
        .size:           2
        .value_kind:     hidden_group_size_y
      - .offset:         72
        .size:           2
        .value_kind:     hidden_group_size_z
      - .offset:         74
        .size:           2
        .value_kind:     hidden_remainder_x
      - .offset:         76
        .size:           2
        .value_kind:     hidden_remainder_y
      - .offset:         78
        .size:           2
        .value_kind:     hidden_remainder_z
      - .offset:         96
        .size:           8
        .value_kind:     hidden_global_offset_x
      - .offset:         104
        .size:           8
        .value_kind:     hidden_global_offset_y
      - .offset:         112
        .size:           8
        .value_kind:     hidden_global_offset_z
      - .offset:         120
        .size:           2
        .value_kind:     hidden_grid_dims
    .group_segment_fixed_size: 0
    .kernarg_segment_align: 8
    .kernarg_segment_size: 312
    .language:       OpenCL C
    .language_version:
      - 2
      - 0
    .max_flat_workgroup_size: 128
    .name:           _Z13topk_moe_cudaILi1ELb0EEvPKfPfPiS2_iiff15topk_moe_config
    .private_segment_fixed_size: 0
    .sgpr_count:     14
    .sgpr_spill_count: 0
    .symbol:         _Z13topk_moe_cudaILi1ELb0EEvPKfPfPiS2_iiff15topk_moe_config.kd
    .uniform_work_group_size: 1
    .uses_dynamic_stack: false
    .vgpr_count:     18
    .vgpr_spill_count: 0
    .wavefront_size: 32
  - .args:
      - .address_space:  global
        .offset:         0
        .size:           8
        .value_kind:     global_buffer
      - .address_space:  global
        .offset:         8
        .size:           8
        .value_kind:     global_buffer
      - .address_space:  global
        .offset:         16
        .size:           8
        .value_kind:     global_buffer
      - .address_space:  global
        .offset:         24
        .size:           8
        .value_kind:     global_buffer
      - .offset:         32
        .size:           4
        .value_kind:     by_value
      - .offset:         36
        .size:           4
        .value_kind:     by_value
      - .offset:         40
        .size:           4
        .value_kind:     by_value
      - .offset:         44
        .size:           4
        .value_kind:     by_value
      - .offset:         48
        .size:           3
        .value_kind:     by_value
      - .offset:         56
        .size:           4
        .value_kind:     hidden_block_count_x
      - .offset:         60
        .size:           4
        .value_kind:     hidden_block_count_y
      - .offset:         64
        .size:           4
        .value_kind:     hidden_block_count_z
      - .offset:         68
        .size:           2
        .value_kind:     hidden_group_size_x
      - .offset:         70
        .size:           2
        .value_kind:     hidden_group_size_y
      - .offset:         72
        .size:           2
        .value_kind:     hidden_group_size_z
      - .offset:         74
        .size:           2
        .value_kind:     hidden_remainder_x
      - .offset:         76
        .size:           2
        .value_kind:     hidden_remainder_y
      - .offset:         78
        .size:           2
        .value_kind:     hidden_remainder_z
      - .offset:         96
        .size:           8
        .value_kind:     hidden_global_offset_x
      - .offset:         104
        .size:           8
        .value_kind:     hidden_global_offset_y
      - .offset:         112
        .size:           8
        .value_kind:     hidden_global_offset_z
      - .offset:         120
        .size:           2
        .value_kind:     hidden_grid_dims
    .group_segment_fixed_size: 0
    .kernarg_segment_align: 8
    .kernarg_segment_size: 312
    .language:       OpenCL C
    .language_version:
      - 2
      - 0
    .max_flat_workgroup_size: 128
    .name:           _Z13topk_moe_cudaILi2ELb0EEvPKfPfPiS2_iiff15topk_moe_config
    .private_segment_fixed_size: 0
    .sgpr_count:     14
    .sgpr_spill_count: 0
    .symbol:         _Z13topk_moe_cudaILi2ELb0EEvPKfPfPiS2_iiff15topk_moe_config.kd
    .uniform_work_group_size: 1
    .uses_dynamic_stack: false
    .vgpr_count:     19
    .vgpr_spill_count: 0
    .wavefront_size: 32
  - .args:
      - .address_space:  global
        .offset:         0
        .size:           8
        .value_kind:     global_buffer
      - .address_space:  global
        .offset:         8
        .size:           8
        .value_kind:     global_buffer
      - .address_space:  global
        .offset:         16
        .size:           8
        .value_kind:     global_buffer
      - .address_space:  global
        .offset:         24
        .size:           8
        .value_kind:     global_buffer
      - .offset:         32
        .size:           4
        .value_kind:     by_value
      - .offset:         36
        .size:           4
        .value_kind:     by_value
      - .offset:         40
        .size:           4
        .value_kind:     by_value
      - .offset:         44
        .size:           4
        .value_kind:     by_value
      - .offset:         48
        .size:           3
        .value_kind:     by_value
      - .offset:         56
        .size:           4
        .value_kind:     hidden_block_count_x
      - .offset:         60
        .size:           4
        .value_kind:     hidden_block_count_y
      - .offset:         64
        .size:           4
        .value_kind:     hidden_block_count_z
      - .offset:         68
        .size:           2
        .value_kind:     hidden_group_size_x
      - .offset:         70
        .size:           2
        .value_kind:     hidden_group_size_y
      - .offset:         72
        .size:           2
        .value_kind:     hidden_group_size_z
      - .offset:         74
        .size:           2
        .value_kind:     hidden_remainder_x
      - .offset:         76
        .size:           2
        .value_kind:     hidden_remainder_y
      - .offset:         78
        .size:           2
        .value_kind:     hidden_remainder_z
      - .offset:         96
        .size:           8
        .value_kind:     hidden_global_offset_x
      - .offset:         104
        .size:           8
        .value_kind:     hidden_global_offset_y
      - .offset:         112
        .size:           8
        .value_kind:     hidden_global_offset_z
      - .offset:         120
        .size:           2
        .value_kind:     hidden_grid_dims
    .group_segment_fixed_size: 0
    .kernarg_segment_align: 8
    .kernarg_segment_size: 312
    .language:       OpenCL C
    .language_version:
      - 2
      - 0
    .max_flat_workgroup_size: 128
    .name:           _Z13topk_moe_cudaILi4ELb0EEvPKfPfPiS2_iiff15topk_moe_config
    .private_segment_fixed_size: 0
    .sgpr_count:     14
    .sgpr_spill_count: 0
    .symbol:         _Z13topk_moe_cudaILi4ELb0EEvPKfPfPiS2_iiff15topk_moe_config.kd
    .uniform_work_group_size: 1
    .uses_dynamic_stack: false
    .vgpr_count:     19
    .vgpr_spill_count: 0
    .wavefront_size: 32
  - .args:
      - .address_space:  global
        .offset:         0
        .size:           8
        .value_kind:     global_buffer
      - .address_space:  global
        .offset:         8
        .size:           8
        .value_kind:     global_buffer
      - .address_space:  global
        .offset:         16
        .size:           8
        .value_kind:     global_buffer
      - .address_space:  global
        .offset:         24
        .size:           8
        .value_kind:     global_buffer
      - .offset:         32
        .size:           4
        .value_kind:     by_value
      - .offset:         36
        .size:           4
        .value_kind:     by_value
      - .offset:         40
        .size:           4
        .value_kind:     by_value
      - .offset:         44
        .size:           4
        .value_kind:     by_value
      - .offset:         48
        .size:           3
        .value_kind:     by_value
      - .offset:         56
        .size:           4
        .value_kind:     hidden_block_count_x
      - .offset:         60
        .size:           4
        .value_kind:     hidden_block_count_y
      - .offset:         64
        .size:           4
        .value_kind:     hidden_block_count_z
      - .offset:         68
        .size:           2
        .value_kind:     hidden_group_size_x
      - .offset:         70
        .size:           2
        .value_kind:     hidden_group_size_y
      - .offset:         72
        .size:           2
        .value_kind:     hidden_group_size_z
      - .offset:         74
        .size:           2
        .value_kind:     hidden_remainder_x
      - .offset:         76
        .size:           2
        .value_kind:     hidden_remainder_y
      - .offset:         78
        .size:           2
        .value_kind:     hidden_remainder_z
      - .offset:         96
        .size:           8
        .value_kind:     hidden_global_offset_x
      - .offset:         104
        .size:           8
        .value_kind:     hidden_global_offset_y
      - .offset:         112
        .size:           8
        .value_kind:     hidden_global_offset_z
      - .offset:         120
        .size:           2
        .value_kind:     hidden_grid_dims
    .group_segment_fixed_size: 0
    .kernarg_segment_align: 8
    .kernarg_segment_size: 312
    .language:       OpenCL C
    .language_version:
      - 2
      - 0
    .max_flat_workgroup_size: 128
    .name:           _Z13topk_moe_cudaILi8ELb0EEvPKfPfPiS2_iiff15topk_moe_config
    .private_segment_fixed_size: 0
    .sgpr_count:     14
    .sgpr_spill_count: 0
    .symbol:         _Z13topk_moe_cudaILi8ELb0EEvPKfPfPiS2_iiff15topk_moe_config.kd
    .uniform_work_group_size: 1
    .uses_dynamic_stack: false
    .vgpr_count:     19
    .vgpr_spill_count: 0
    .wavefront_size: 32
  - .args:
      - .address_space:  global
        .offset:         0
        .size:           8
        .value_kind:     global_buffer
      - .address_space:  global
        .offset:         8
        .size:           8
        .value_kind:     global_buffer
      - .address_space:  global
        .offset:         16
        .size:           8
        .value_kind:     global_buffer
      - .address_space:  global
        .offset:         24
        .size:           8
        .value_kind:     global_buffer
      - .offset:         32
        .size:           4
        .value_kind:     by_value
      - .offset:         36
        .size:           4
        .value_kind:     by_value
      - .offset:         40
        .size:           4
        .value_kind:     by_value
      - .offset:         44
        .size:           4
        .value_kind:     by_value
      - .offset:         48
        .size:           3
        .value_kind:     by_value
      - .offset:         56
        .size:           4
        .value_kind:     hidden_block_count_x
      - .offset:         60
        .size:           4
        .value_kind:     hidden_block_count_y
      - .offset:         64
        .size:           4
        .value_kind:     hidden_block_count_z
      - .offset:         68
        .size:           2
        .value_kind:     hidden_group_size_x
      - .offset:         70
        .size:           2
        .value_kind:     hidden_group_size_y
      - .offset:         72
        .size:           2
        .value_kind:     hidden_group_size_z
      - .offset:         74
        .size:           2
        .value_kind:     hidden_remainder_x
      - .offset:         76
        .size:           2
        .value_kind:     hidden_remainder_y
      - .offset:         78
        .size:           2
        .value_kind:     hidden_remainder_z
      - .offset:         96
        .size:           8
        .value_kind:     hidden_global_offset_x
      - .offset:         104
        .size:           8
        .value_kind:     hidden_global_offset_y
      - .offset:         112
        .size:           8
        .value_kind:     hidden_global_offset_z
      - .offset:         120
        .size:           2
        .value_kind:     hidden_grid_dims
    .group_segment_fixed_size: 0
    .kernarg_segment_align: 8
    .kernarg_segment_size: 312
    .language:       OpenCL C
    .language_version:
      - 2
      - 0
    .max_flat_workgroup_size: 128
    .name:           _Z13topk_moe_cudaILi16ELb0EEvPKfPfPiS2_iiff15topk_moe_config
    .private_segment_fixed_size: 0
    .sgpr_count:     14
    .sgpr_spill_count: 0
    .symbol:         _Z13topk_moe_cudaILi16ELb0EEvPKfPfPiS2_iiff15topk_moe_config.kd
    .uniform_work_group_size: 1
    .uses_dynamic_stack: false
    .vgpr_count:     19
    .vgpr_spill_count: 0
    .wavefront_size: 32
  - .args:
      - .address_space:  global
        .offset:         0
        .size:           8
        .value_kind:     global_buffer
      - .address_space:  global
        .offset:         8
        .size:           8
        .value_kind:     global_buffer
      - .address_space:  global
        .offset:         16
        .size:           8
        .value_kind:     global_buffer
      - .address_space:  global
        .offset:         24
        .size:           8
        .value_kind:     global_buffer
      - .offset:         32
        .size:           4
        .value_kind:     by_value
      - .offset:         36
        .size:           4
        .value_kind:     by_value
      - .offset:         40
        .size:           4
        .value_kind:     by_value
      - .offset:         44
        .size:           4
        .value_kind:     by_value
      - .offset:         48
        .size:           3
        .value_kind:     by_value
      - .offset:         56
        .size:           4
        .value_kind:     hidden_block_count_x
      - .offset:         60
        .size:           4
        .value_kind:     hidden_block_count_y
      - .offset:         64
        .size:           4
        .value_kind:     hidden_block_count_z
      - .offset:         68
        .size:           2
        .value_kind:     hidden_group_size_x
      - .offset:         70
        .size:           2
        .value_kind:     hidden_group_size_y
      - .offset:         72
        .size:           2
        .value_kind:     hidden_group_size_z
      - .offset:         74
        .size:           2
        .value_kind:     hidden_remainder_x
      - .offset:         76
        .size:           2
        .value_kind:     hidden_remainder_y
      - .offset:         78
        .size:           2
        .value_kind:     hidden_remainder_z
      - .offset:         96
        .size:           8
        .value_kind:     hidden_global_offset_x
      - .offset:         104
        .size:           8
        .value_kind:     hidden_global_offset_y
      - .offset:         112
        .size:           8
        .value_kind:     hidden_global_offset_z
      - .offset:         120
        .size:           2
        .value_kind:     hidden_grid_dims
    .group_segment_fixed_size: 0
    .kernarg_segment_align: 8
    .kernarg_segment_size: 312
    .language:       OpenCL C
    .language_version:
      - 2
      - 0
    .max_flat_workgroup_size: 128
    .name:           _Z13topk_moe_cudaILi32ELb0EEvPKfPfPiS2_iiff15topk_moe_config
    .private_segment_fixed_size: 0
    .sgpr_count:     14
    .sgpr_spill_count: 0
    .symbol:         _Z13topk_moe_cudaILi32ELb0EEvPKfPfPiS2_iiff15topk_moe_config.kd
    .uniform_work_group_size: 1
    .uses_dynamic_stack: false
    .vgpr_count:     19
    .vgpr_spill_count: 0
    .wavefront_size: 32
  - .args:
      - .address_space:  global
        .offset:         0
        .size:           8
        .value_kind:     global_buffer
      - .address_space:  global
        .offset:         8
        .size:           8
        .value_kind:     global_buffer
      - .address_space:  global
        .offset:         16
        .size:           8
        .value_kind:     global_buffer
      - .address_space:  global
        .offset:         24
        .size:           8
        .value_kind:     global_buffer
      - .offset:         32
        .size:           4
        .value_kind:     by_value
      - .offset:         36
        .size:           4
        .value_kind:     by_value
      - .offset:         40
        .size:           4
        .value_kind:     by_value
      - .offset:         44
        .size:           4
        .value_kind:     by_value
      - .offset:         48
        .size:           3
        .value_kind:     by_value
      - .offset:         56
        .size:           4
        .value_kind:     hidden_block_count_x
      - .offset:         60
        .size:           4
        .value_kind:     hidden_block_count_y
      - .offset:         64
        .size:           4
        .value_kind:     hidden_block_count_z
      - .offset:         68
        .size:           2
        .value_kind:     hidden_group_size_x
      - .offset:         70
        .size:           2
        .value_kind:     hidden_group_size_y
      - .offset:         72
        .size:           2
        .value_kind:     hidden_group_size_z
      - .offset:         74
        .size:           2
        .value_kind:     hidden_remainder_x
      - .offset:         76
        .size:           2
        .value_kind:     hidden_remainder_y
      - .offset:         78
        .size:           2
        .value_kind:     hidden_remainder_z
      - .offset:         96
        .size:           8
        .value_kind:     hidden_global_offset_x
      - .offset:         104
        .size:           8
        .value_kind:     hidden_global_offset_y
      - .offset:         112
        .size:           8
        .value_kind:     hidden_global_offset_z
      - .offset:         120
        .size:           2
        .value_kind:     hidden_grid_dims
    .group_segment_fixed_size: 0
    .kernarg_segment_align: 8
    .kernarg_segment_size: 312
    .language:       OpenCL C
    .language_version:
      - 2
      - 0
    .max_flat_workgroup_size: 128
    .name:           _Z13topk_moe_cudaILi64ELb0EEvPKfPfPiS2_iiff15topk_moe_config
    .private_segment_fixed_size: 0
    .sgpr_count:     14
    .sgpr_spill_count: 0
    .symbol:         _Z13topk_moe_cudaILi64ELb0EEvPKfPfPiS2_iiff15topk_moe_config.kd
    .uniform_work_group_size: 1
    .uses_dynamic_stack: false
    .vgpr_count:     21
    .vgpr_spill_count: 0
    .wavefront_size: 32
  - .args:
      - .address_space:  global
        .offset:         0
        .size:           8
        .value_kind:     global_buffer
      - .address_space:  global
        .offset:         8
        .size:           8
        .value_kind:     global_buffer
      - .address_space:  global
        .offset:         16
        .size:           8
        .value_kind:     global_buffer
      - .address_space:  global
        .offset:         24
        .size:           8
        .value_kind:     global_buffer
      - .offset:         32
        .size:           4
        .value_kind:     by_value
      - .offset:         36
        .size:           4
        .value_kind:     by_value
      - .offset:         40
        .size:           4
        .value_kind:     by_value
      - .offset:         44
        .size:           4
        .value_kind:     by_value
      - .offset:         48
        .size:           3
        .value_kind:     by_value
      - .offset:         56
        .size:           4
        .value_kind:     hidden_block_count_x
      - .offset:         60
        .size:           4
        .value_kind:     hidden_block_count_y
      - .offset:         64
        .size:           4
        .value_kind:     hidden_block_count_z
      - .offset:         68
        .size:           2
        .value_kind:     hidden_group_size_x
      - .offset:         70
        .size:           2
        .value_kind:     hidden_group_size_y
      - .offset:         72
        .size:           2
        .value_kind:     hidden_group_size_z
      - .offset:         74
        .size:           2
        .value_kind:     hidden_remainder_x
      - .offset:         76
        .size:           2
        .value_kind:     hidden_remainder_y
      - .offset:         78
        .size:           2
        .value_kind:     hidden_remainder_z
      - .offset:         96
        .size:           8
        .value_kind:     hidden_global_offset_x
      - .offset:         104
        .size:           8
        .value_kind:     hidden_global_offset_y
      - .offset:         112
        .size:           8
        .value_kind:     hidden_global_offset_z
      - .offset:         120
        .size:           2
        .value_kind:     hidden_grid_dims
    .group_segment_fixed_size: 0
    .kernarg_segment_align: 8
    .kernarg_segment_size: 312
    .language:       OpenCL C
    .language_version:
      - 2
      - 0
    .max_flat_workgroup_size: 128
    .name:           _Z13topk_moe_cudaILi128ELb0EEvPKfPfPiS2_iiff15topk_moe_config
    .private_segment_fixed_size: 0
    .sgpr_count:     16
    .sgpr_spill_count: 0
    .symbol:         _Z13topk_moe_cudaILi128ELb0EEvPKfPfPiS2_iiff15topk_moe_config.kd
    .uniform_work_group_size: 1
    .uses_dynamic_stack: false
    .vgpr_count:     30
    .vgpr_spill_count: 0
    .wavefront_size: 32
  - .args:
      - .address_space:  global
        .offset:         0
        .size:           8
        .value_kind:     global_buffer
      - .address_space:  global
        .offset:         8
        .size:           8
        .value_kind:     global_buffer
      - .address_space:  global
        .offset:         16
        .size:           8
        .value_kind:     global_buffer
      - .address_space:  global
        .offset:         24
        .size:           8
        .value_kind:     global_buffer
      - .offset:         32
        .size:           4
        .value_kind:     by_value
      - .offset:         36
        .size:           4
        .value_kind:     by_value
      - .offset:         40
        .size:           4
        .value_kind:     by_value
      - .offset:         44
        .size:           4
        .value_kind:     by_value
      - .offset:         48
        .size:           3
        .value_kind:     by_value
      - .offset:         56
        .size:           4
        .value_kind:     hidden_block_count_x
      - .offset:         60
        .size:           4
        .value_kind:     hidden_block_count_y
      - .offset:         64
        .size:           4
        .value_kind:     hidden_block_count_z
      - .offset:         68
        .size:           2
        .value_kind:     hidden_group_size_x
      - .offset:         70
        .size:           2
        .value_kind:     hidden_group_size_y
      - .offset:         72
        .size:           2
        .value_kind:     hidden_group_size_z
      - .offset:         74
        .size:           2
        .value_kind:     hidden_remainder_x
      - .offset:         76
        .size:           2
        .value_kind:     hidden_remainder_y
      - .offset:         78
        .size:           2
        .value_kind:     hidden_remainder_z
      - .offset:         96
        .size:           8
        .value_kind:     hidden_global_offset_x
      - .offset:         104
        .size:           8
        .value_kind:     hidden_global_offset_y
      - .offset:         112
        .size:           8
        .value_kind:     hidden_global_offset_z
      - .offset:         120
        .size:           2
        .value_kind:     hidden_grid_dims
    .group_segment_fixed_size: 0
    .kernarg_segment_align: 8
    .kernarg_segment_size: 312
    .language:       OpenCL C
    .language_version:
      - 2
      - 0
    .max_flat_workgroup_size: 128
    .name:           _Z13topk_moe_cudaILi256ELb0EEvPKfPfPiS2_iiff15topk_moe_config
    .private_segment_fixed_size: 0
    .sgpr_count:     19
    .sgpr_spill_count: 0
    .symbol:         _Z13topk_moe_cudaILi256ELb0EEvPKfPfPiS2_iiff15topk_moe_config.kd
    .uniform_work_group_size: 1
    .uses_dynamic_stack: false
    .vgpr_count:     50
    .vgpr_spill_count: 0
    .wavefront_size: 32
  - .args:
      - .address_space:  global
        .offset:         0
        .size:           8
        .value_kind:     global_buffer
      - .address_space:  global
        .offset:         8
        .size:           8
        .value_kind:     global_buffer
      - .address_space:  global
        .offset:         16
        .size:           8
        .value_kind:     global_buffer
      - .address_space:  global
        .offset:         24
        .size:           8
        .value_kind:     global_buffer
      - .offset:         32
        .size:           4
        .value_kind:     by_value
      - .offset:         36
        .size:           4
        .value_kind:     by_value
      - .offset:         40
        .size:           4
        .value_kind:     by_value
      - .offset:         44
        .size:           4
        .value_kind:     by_value
      - .offset:         48
        .size:           3
        .value_kind:     by_value
      - .offset:         56
        .size:           4
        .value_kind:     hidden_block_count_x
      - .offset:         60
        .size:           4
        .value_kind:     hidden_block_count_y
      - .offset:         64
        .size:           4
        .value_kind:     hidden_block_count_z
      - .offset:         68
        .size:           2
        .value_kind:     hidden_group_size_x
      - .offset:         70
        .size:           2
        .value_kind:     hidden_group_size_y
      - .offset:         72
        .size:           2
        .value_kind:     hidden_group_size_z
      - .offset:         74
        .size:           2
        .value_kind:     hidden_remainder_x
      - .offset:         76
        .size:           2
        .value_kind:     hidden_remainder_y
      - .offset:         78
        .size:           2
        .value_kind:     hidden_remainder_z
      - .offset:         96
        .size:           8
        .value_kind:     hidden_global_offset_x
      - .offset:         104
        .size:           8
        .value_kind:     hidden_global_offset_y
      - .offset:         112
        .size:           8
        .value_kind:     hidden_global_offset_z
      - .offset:         120
        .size:           2
        .value_kind:     hidden_grid_dims
    .group_segment_fixed_size: 0
    .kernarg_segment_align: 8
    .kernarg_segment_size: 312
    .language:       OpenCL C
    .language_version:
      - 2
      - 0
    .max_flat_workgroup_size: 128
    .name:           _Z13topk_moe_cudaILi512ELb0EEvPKfPfPiS2_iiff15topk_moe_config
    .private_segment_fixed_size: 0
    .sgpr_count:     54
    .sgpr_spill_count: 0
    .symbol:         _Z13topk_moe_cudaILi512ELb0EEvPKfPfPiS2_iiff15topk_moe_config.kd
    .uniform_work_group_size: 1
    .uses_dynamic_stack: false
    .vgpr_count:     90
    .vgpr_spill_count: 0
    .wavefront_size: 32
  - .args:
      - .address_space:  global
        .offset:         0
        .size:           8
        .value_kind:     global_buffer
      - .address_space:  global
        .offset:         8
        .size:           8
        .value_kind:     global_buffer
      - .address_space:  global
        .offset:         16
        .size:           8
        .value_kind:     global_buffer
      - .address_space:  global
        .offset:         24
        .size:           8
        .value_kind:     global_buffer
      - .offset:         32
        .size:           4
        .value_kind:     by_value
      - .offset:         36
        .size:           4
        .value_kind:     by_value
      - .offset:         40
        .size:           4
        .value_kind:     by_value
      - .offset:         44
        .size:           4
        .value_kind:     by_value
      - .offset:         48
        .size:           3
        .value_kind:     by_value
      - .offset:         56
        .size:           4
        .value_kind:     hidden_block_count_x
      - .offset:         60
        .size:           4
        .value_kind:     hidden_block_count_y
      - .offset:         64
        .size:           4
        .value_kind:     hidden_block_count_z
      - .offset:         68
        .size:           2
        .value_kind:     hidden_group_size_x
      - .offset:         70
        .size:           2
        .value_kind:     hidden_group_size_y
      - .offset:         72
        .size:           2
        .value_kind:     hidden_group_size_z
      - .offset:         74
        .size:           2
        .value_kind:     hidden_remainder_x
      - .offset:         76
        .size:           2
        .value_kind:     hidden_remainder_y
      - .offset:         78
        .size:           2
        .value_kind:     hidden_remainder_z
      - .offset:         96
        .size:           8
        .value_kind:     hidden_global_offset_x
      - .offset:         104
        .size:           8
        .value_kind:     hidden_global_offset_y
      - .offset:         112
        .size:           8
        .value_kind:     hidden_global_offset_z
      - .offset:         120
        .size:           2
        .value_kind:     hidden_grid_dims
    .group_segment_fixed_size: 0
    .kernarg_segment_align: 8
    .kernarg_segment_size: 312
    .language:       OpenCL C
    .language_version:
      - 2
      - 0
    .max_flat_workgroup_size: 128
    .name:           _Z13topk_moe_cudaILi576ELb0EEvPKfPfPiS2_iiff15topk_moe_config
    .private_segment_fixed_size: 0
    .sgpr_count:     30
    .sgpr_spill_count: 0
    .symbol:         _Z13topk_moe_cudaILi576ELb0EEvPKfPfPiS2_iiff15topk_moe_config.kd
    .uniform_work_group_size: 1
    .uses_dynamic_stack: false
    .vgpr_count:     100
    .vgpr_spill_count: 0
    .wavefront_size: 32
amdhsa.target:   amdgcn-amd-amdhsa--gfx1250
amdhsa.version:
  - 1
  - 2
...

	.end_amdgpu_metadata
